;; amdgpu-corpus repo=ROCm/rocFFT kind=compiled arch=gfx1030 opt=O3
	.text
	.amdgcn_target "amdgcn-amd-amdhsa--gfx1030"
	.amdhsa_code_object_version 6
	.protected	fft_rtc_back_len2430_factors_10_3_3_3_3_3_wgs_81_tpt_81_halfLds_dp_ip_CI_unitstride_sbrr_R2C_dirReg ; -- Begin function fft_rtc_back_len2430_factors_10_3_3_3_3_3_wgs_81_tpt_81_halfLds_dp_ip_CI_unitstride_sbrr_R2C_dirReg
	.globl	fft_rtc_back_len2430_factors_10_3_3_3_3_3_wgs_81_tpt_81_halfLds_dp_ip_CI_unitstride_sbrr_R2C_dirReg
	.p2align	8
	.type	fft_rtc_back_len2430_factors_10_3_3_3_3_3_wgs_81_tpt_81_halfLds_dp_ip_CI_unitstride_sbrr_R2C_dirReg,@function
fft_rtc_back_len2430_factors_10_3_3_3_3_3_wgs_81_tpt_81_halfLds_dp_ip_CI_unitstride_sbrr_R2C_dirReg: ; @fft_rtc_back_len2430_factors_10_3_3_3_3_3_wgs_81_tpt_81_halfLds_dp_ip_CI_unitstride_sbrr_R2C_dirReg
; %bb.0:
	s_clause 0x2
	s_load_dwordx4 s[8:11], s[4:5], 0x0
	s_load_dwordx2 s[2:3], s[4:5], 0x50
	s_load_dwordx2 s[12:13], s[4:5], 0x18
	v_mul_u32_u24_e32 v1, 0x32a, v0
	v_mov_b32_e32 v3, 0
	v_add_nc_u32_sdwa v5, s6, v1 dst_sel:DWORD dst_unused:UNUSED_PAD src0_sel:DWORD src1_sel:WORD_1
	v_mov_b32_e32 v1, 0
	v_mov_b32_e32 v6, v3
	v_mov_b32_e32 v2, 0
	s_waitcnt lgkmcnt(0)
	v_cmp_lt_u64_e64 s0, s[10:11], 2
	s_and_b32 vcc_lo, exec_lo, s0
	s_cbranch_vccnz .LBB0_8
; %bb.1:
	s_load_dwordx2 s[0:1], s[4:5], 0x10
	v_mov_b32_e32 v1, 0
	s_add_u32 s6, s12, 8
	v_mov_b32_e32 v2, 0
	s_addc_u32 s7, s13, 0
	s_mov_b64 s[16:17], 1
	s_waitcnt lgkmcnt(0)
	s_add_u32 s14, s0, 8
	s_addc_u32 s15, s1, 0
.LBB0_2:                                ; =>This Inner Loop Header: Depth=1
	s_load_dwordx2 s[18:19], s[14:15], 0x0
                                        ; implicit-def: $vgpr7_vgpr8
	s_mov_b32 s0, exec_lo
	s_waitcnt lgkmcnt(0)
	v_or_b32_e32 v4, s19, v6
	v_cmpx_ne_u64_e32 0, v[3:4]
	s_xor_b32 s1, exec_lo, s0
	s_cbranch_execz .LBB0_4
; %bb.3:                                ;   in Loop: Header=BB0_2 Depth=1
	v_cvt_f32_u32_e32 v4, s18
	v_cvt_f32_u32_e32 v7, s19
	s_sub_u32 s0, 0, s18
	s_subb_u32 s20, 0, s19
	v_fmac_f32_e32 v4, 0x4f800000, v7
	v_rcp_f32_e32 v4, v4
	v_mul_f32_e32 v4, 0x5f7ffffc, v4
	v_mul_f32_e32 v7, 0x2f800000, v4
	v_trunc_f32_e32 v7, v7
	v_fmac_f32_e32 v4, 0xcf800000, v7
	v_cvt_u32_f32_e32 v7, v7
	v_cvt_u32_f32_e32 v4, v4
	v_mul_lo_u32 v8, s0, v7
	v_mul_hi_u32 v9, s0, v4
	v_mul_lo_u32 v10, s20, v4
	v_add_nc_u32_e32 v8, v9, v8
	v_mul_lo_u32 v9, s0, v4
	v_add_nc_u32_e32 v8, v8, v10
	v_mul_hi_u32 v10, v4, v9
	v_mul_lo_u32 v11, v4, v8
	v_mul_hi_u32 v12, v4, v8
	v_mul_hi_u32 v13, v7, v9
	v_mul_lo_u32 v9, v7, v9
	v_mul_hi_u32 v14, v7, v8
	v_mul_lo_u32 v8, v7, v8
	v_add_co_u32 v10, vcc_lo, v10, v11
	v_add_co_ci_u32_e32 v11, vcc_lo, 0, v12, vcc_lo
	v_add_co_u32 v9, vcc_lo, v10, v9
	v_add_co_ci_u32_e32 v9, vcc_lo, v11, v13, vcc_lo
	v_add_co_ci_u32_e32 v10, vcc_lo, 0, v14, vcc_lo
	v_add_co_u32 v8, vcc_lo, v9, v8
	v_add_co_ci_u32_e32 v9, vcc_lo, 0, v10, vcc_lo
	v_add_co_u32 v4, vcc_lo, v4, v8
	v_add_co_ci_u32_e32 v7, vcc_lo, v7, v9, vcc_lo
	v_mul_hi_u32 v8, s0, v4
	v_mul_lo_u32 v10, s20, v4
	v_mul_lo_u32 v9, s0, v7
	v_add_nc_u32_e32 v8, v8, v9
	v_mul_lo_u32 v9, s0, v4
	v_add_nc_u32_e32 v8, v8, v10
	v_mul_hi_u32 v10, v4, v9
	v_mul_lo_u32 v11, v4, v8
	v_mul_hi_u32 v12, v4, v8
	v_mul_hi_u32 v13, v7, v9
	v_mul_lo_u32 v9, v7, v9
	v_mul_hi_u32 v14, v7, v8
	v_mul_lo_u32 v8, v7, v8
	v_add_co_u32 v10, vcc_lo, v10, v11
	v_add_co_ci_u32_e32 v11, vcc_lo, 0, v12, vcc_lo
	v_add_co_u32 v9, vcc_lo, v10, v9
	v_add_co_ci_u32_e32 v9, vcc_lo, v11, v13, vcc_lo
	v_add_co_ci_u32_e32 v10, vcc_lo, 0, v14, vcc_lo
	v_add_co_u32 v8, vcc_lo, v9, v8
	v_add_co_ci_u32_e32 v9, vcc_lo, 0, v10, vcc_lo
	v_add_co_u32 v4, vcc_lo, v4, v8
	v_add_co_ci_u32_e32 v11, vcc_lo, v7, v9, vcc_lo
	v_mul_hi_u32 v13, v5, v4
	v_mad_u64_u32 v[9:10], null, v6, v4, 0
	v_mad_u64_u32 v[7:8], null, v5, v11, 0
	;; [unrolled: 1-line block ×3, first 2 shown]
	v_add_co_u32 v4, vcc_lo, v13, v7
	v_add_co_ci_u32_e32 v7, vcc_lo, 0, v8, vcc_lo
	v_add_co_u32 v4, vcc_lo, v4, v9
	v_add_co_ci_u32_e32 v4, vcc_lo, v7, v10, vcc_lo
	v_add_co_ci_u32_e32 v7, vcc_lo, 0, v12, vcc_lo
	v_add_co_u32 v4, vcc_lo, v4, v11
	v_add_co_ci_u32_e32 v9, vcc_lo, 0, v7, vcc_lo
	v_mul_lo_u32 v10, s19, v4
	v_mad_u64_u32 v[7:8], null, s18, v4, 0
	v_mul_lo_u32 v11, s18, v9
	v_sub_co_u32 v7, vcc_lo, v5, v7
	v_add3_u32 v8, v8, v11, v10
	v_sub_nc_u32_e32 v10, v6, v8
	v_subrev_co_ci_u32_e64 v10, s0, s19, v10, vcc_lo
	v_add_co_u32 v11, s0, v4, 2
	v_add_co_ci_u32_e64 v12, s0, 0, v9, s0
	v_sub_co_u32 v13, s0, v7, s18
	v_sub_co_ci_u32_e32 v8, vcc_lo, v6, v8, vcc_lo
	v_subrev_co_ci_u32_e64 v10, s0, 0, v10, s0
	v_cmp_le_u32_e32 vcc_lo, s18, v13
	v_cmp_eq_u32_e64 s0, s19, v8
	v_cndmask_b32_e64 v13, 0, -1, vcc_lo
	v_cmp_le_u32_e32 vcc_lo, s19, v10
	v_cndmask_b32_e64 v14, 0, -1, vcc_lo
	v_cmp_le_u32_e32 vcc_lo, s18, v7
	;; [unrolled: 2-line block ×3, first 2 shown]
	v_cndmask_b32_e64 v15, 0, -1, vcc_lo
	v_cmp_eq_u32_e32 vcc_lo, s19, v10
	v_cndmask_b32_e64 v7, v15, v7, s0
	v_cndmask_b32_e32 v10, v14, v13, vcc_lo
	v_add_co_u32 v13, vcc_lo, v4, 1
	v_add_co_ci_u32_e32 v14, vcc_lo, 0, v9, vcc_lo
	v_cmp_ne_u32_e32 vcc_lo, 0, v10
	v_cndmask_b32_e32 v8, v14, v12, vcc_lo
	v_cndmask_b32_e32 v10, v13, v11, vcc_lo
	v_cmp_ne_u32_e32 vcc_lo, 0, v7
	v_cndmask_b32_e32 v8, v9, v8, vcc_lo
	v_cndmask_b32_e32 v7, v4, v10, vcc_lo
.LBB0_4:                                ;   in Loop: Header=BB0_2 Depth=1
	s_andn2_saveexec_b32 s0, s1
	s_cbranch_execz .LBB0_6
; %bb.5:                                ;   in Loop: Header=BB0_2 Depth=1
	v_cvt_f32_u32_e32 v4, s18
	s_sub_i32 s1, 0, s18
	v_rcp_iflag_f32_e32 v4, v4
	v_mul_f32_e32 v4, 0x4f7ffffe, v4
	v_cvt_u32_f32_e32 v4, v4
	v_mul_lo_u32 v7, s1, v4
	v_mul_hi_u32 v7, v4, v7
	v_add_nc_u32_e32 v4, v4, v7
	v_mul_hi_u32 v4, v5, v4
	v_mul_lo_u32 v7, v4, s18
	v_add_nc_u32_e32 v8, 1, v4
	v_sub_nc_u32_e32 v7, v5, v7
	v_subrev_nc_u32_e32 v9, s18, v7
	v_cmp_le_u32_e32 vcc_lo, s18, v7
	v_cndmask_b32_e32 v7, v7, v9, vcc_lo
	v_cndmask_b32_e32 v4, v4, v8, vcc_lo
	v_cmp_le_u32_e32 vcc_lo, s18, v7
	v_add_nc_u32_e32 v8, 1, v4
	v_cndmask_b32_e32 v7, v4, v8, vcc_lo
	v_mov_b32_e32 v8, v3
.LBB0_6:                                ;   in Loop: Header=BB0_2 Depth=1
	s_or_b32 exec_lo, exec_lo, s0
	s_load_dwordx2 s[0:1], s[6:7], 0x0
	v_mul_lo_u32 v4, v8, s18
	v_mul_lo_u32 v11, v7, s19
	v_mad_u64_u32 v[9:10], null, v7, s18, 0
	s_add_u32 s16, s16, 1
	s_addc_u32 s17, s17, 0
	s_add_u32 s6, s6, 8
	s_addc_u32 s7, s7, 0
	;; [unrolled: 2-line block ×3, first 2 shown]
	v_add3_u32 v4, v10, v11, v4
	v_sub_co_u32 v5, vcc_lo, v5, v9
	v_sub_co_ci_u32_e32 v4, vcc_lo, v6, v4, vcc_lo
	s_waitcnt lgkmcnt(0)
	v_mul_lo_u32 v6, s1, v5
	v_mul_lo_u32 v4, s0, v4
	v_mad_u64_u32 v[1:2], null, s0, v5, v[1:2]
	v_cmp_ge_u64_e64 s0, s[16:17], s[10:11]
	s_and_b32 vcc_lo, exec_lo, s0
	v_add3_u32 v2, v6, v2, v4
	s_cbranch_vccnz .LBB0_9
; %bb.7:                                ;   in Loop: Header=BB0_2 Depth=1
	v_mov_b32_e32 v5, v7
	v_mov_b32_e32 v6, v8
	s_branch .LBB0_2
.LBB0_8:
	v_mov_b32_e32 v8, v6
	v_mov_b32_e32 v7, v5
.LBB0_9:
	s_lshl_b64 s[0:1], s[10:11], 3
	v_mul_hi_u32 v3, 0x3291620, v0
	s_add_u32 s0, s12, s0
	s_addc_u32 s1, s13, s1
	s_load_dwordx2 s[4:5], s[4:5], 0x20
	s_load_dwordx2 s[0:1], s[0:1], 0x0
	v_mul_u32_u24_e32 v3, 0x51, v3
	v_sub_nc_u32_e32 v88, v0, v3
	v_add_nc_u32_e32 v90, 0x51, v88
	v_add_nc_u32_e32 v101, 0xa2, v88
	;; [unrolled: 1-line block ×5, first 2 shown]
	s_waitcnt lgkmcnt(0)
	v_cmp_gt_u64_e32 vcc_lo, s[4:5], v[7:8]
	v_mul_lo_u32 v3, s0, v8
	v_mul_lo_u32 v4, s1, v7
	v_mad_u64_u32 v[0:1], null, s0, v7, v[1:2]
	v_cmp_le_u64_e64 s0, s[4:5], v[7:8]
	v_add_nc_u32_e32 v97, 0x1e6, v88
	v_add_nc_u32_e32 v96, 0x237, v88
	;; [unrolled: 1-line block ×4, first 2 shown]
	v_add3_u32 v1, v4, v1, v3
	s_and_saveexec_b32 s1, s0
	s_xor_b32 s0, exec_lo, s1
; %bb.10:
	v_add_nc_u32_e32 v90, 0x51, v88
	v_add_nc_u32_e32 v101, 0xa2, v88
	;; [unrolled: 1-line block ×9, first 2 shown]
; %bb.11:
	s_or_saveexec_b32 s1, s0
	v_lshlrev_b64 v[92:93], 4, v[0:1]
	s_xor_b32 exec_lo, exec_lo, s1
	s_cbranch_execz .LBB0_13
; %bb.12:
	v_mov_b32_e32 v89, 0
	v_add_co_u32 v2, s0, s2, v92
	v_add_co_ci_u32_e64 v3, s0, s3, v93, s0
	v_lshlrev_b64 v[0:1], 4, v[88:89]
	v_lshl_add_u32 v89, v88, 4, 0
	v_add_co_u32 v48, s0, v2, v0
	v_add_co_ci_u32_e64 v49, s0, v3, v1, s0
	s_clause 0x1
	global_load_dwordx4 v[0:3], v[48:49], off
	global_load_dwordx4 v[4:7], v[48:49], off offset:1296
	v_add_co_u32 v12, s0, 0x800, v48
	v_add_co_ci_u32_e64 v13, s0, 0, v49, s0
	v_add_co_u32 v16, s0, 0x1000, v48
	v_add_co_ci_u32_e64 v17, s0, 0, v49, s0
	v_add_co_u32 v24, s0, 0x1800, v48
	v_add_co_ci_u32_e64 v25, s0, 0, v49, s0
	v_add_co_u32 v28, s0, 0x2000, v48
	v_add_co_ci_u32_e64 v29, s0, 0, v49, s0
	v_add_co_u32 v36, s0, 0x2800, v48
	v_add_co_ci_u32_e64 v37, s0, 0, v49, s0
	v_add_co_u32 v44, s0, 0x3000, v48
	v_add_co_ci_u32_e64 v45, s0, 0, v49, s0
	v_add_co_u32 v50, s0, 0x3800, v48
	v_add_co_ci_u32_e64 v51, s0, 0, v49, s0
	v_add_co_u32 v56, s0, 0x4000, v48
	v_add_co_ci_u32_e64 v57, s0, 0, v49, s0
	v_add_co_u32 v60, s0, 0x4800, v48
	v_add_co_ci_u32_e64 v61, s0, 0, v49, s0
	v_add_co_u32 v68, s0, 0x5000, v48
	v_add_co_ci_u32_e64 v69, s0, 0, v49, s0
	v_add_co_u32 v72, s0, 0x5800, v48
	v_add_co_ci_u32_e64 v73, s0, 0, v49, s0
	v_add_co_u32 v80, s0, 0x6000, v48
	v_add_co_ci_u32_e64 v81, s0, 0, v49, s0
	v_add_co_u32 v102, s0, 0x6800, v48
	v_add_co_ci_u32_e64 v103, s0, 0, v49, s0
	v_add_co_u32 v106, s0, 0x7000, v48
	v_add_co_ci_u32_e64 v107, s0, 0, v49, s0
	v_add_co_u32 v114, s0, 0x7800, v48
	v_add_co_ci_u32_e64 v115, s0, 0, v49, s0
	v_add_co_u32 v118, s0, 0x8000, v48
	v_add_co_ci_u32_e64 v119, s0, 0, v49, s0
	v_add_co_u32 v126, s0, 0x8800, v48
	v_add_co_ci_u32_e64 v127, s0, 0, v49, s0
	v_add_co_u32 v130, s0, 0x9000, v48
	v_add_co_ci_u32_e64 v131, s0, 0, v49, s0
	s_clause 0x1b
	global_load_dwordx4 v[8:11], v[12:13], off offset:544
	global_load_dwordx4 v[12:15], v[12:13], off offset:1840
	global_load_dwordx4 v[16:19], v[16:17], off offset:1088
	global_load_dwordx4 v[20:23], v[24:25], off offset:336
	global_load_dwordx4 v[24:27], v[24:25], off offset:1632
	global_load_dwordx4 v[28:31], v[28:29], off offset:880
	global_load_dwordx4 v[32:35], v[36:37], off offset:128
	global_load_dwordx4 v[36:39], v[36:37], off offset:1424
	global_load_dwordx4 v[40:43], v[44:45], off offset:672
	global_load_dwordx4 v[44:47], v[44:45], off offset:1968
	global_load_dwordx4 v[48:51], v[50:51], off offset:1216
	global_load_dwordx4 v[52:55], v[56:57], off offset:464
	global_load_dwordx4 v[56:59], v[56:57], off offset:1760
	global_load_dwordx4 v[60:63], v[60:61], off offset:1008
	global_load_dwordx4 v[64:67], v[68:69], off offset:256
	global_load_dwordx4 v[68:71], v[68:69], off offset:1552
	global_load_dwordx4 v[72:75], v[72:73], off offset:800
	global_load_dwordx4 v[76:79], v[80:81], off offset:48
	global_load_dwordx4 v[80:83], v[80:81], off offset:1344
	global_load_dwordx4 v[84:87], v[102:103], off offset:592
	global_load_dwordx4 v[102:105], v[102:103], off offset:1888
	global_load_dwordx4 v[106:109], v[106:107], off offset:1136
	global_load_dwordx4 v[110:113], v[114:115], off offset:384
	global_load_dwordx4 v[114:117], v[114:115], off offset:1680
	global_load_dwordx4 v[118:121], v[118:119], off offset:928
	global_load_dwordx4 v[122:125], v[126:127], off offset:176
	global_load_dwordx4 v[126:129], v[126:127], off offset:1472
	global_load_dwordx4 v[130:133], v[130:131], off offset:720
	s_waitcnt vmcnt(29)
	ds_write_b128 v89, v[0:3]
	s_waitcnt vmcnt(28)
	ds_write_b128 v89, v[4:7] offset:1296
	s_waitcnt vmcnt(27)
	ds_write_b128 v89, v[8:11] offset:2592
	s_waitcnt vmcnt(26)
	ds_write_b128 v89, v[12:15] offset:3888
	s_waitcnt vmcnt(25)
	ds_write_b128 v89, v[16:19] offset:5184
	s_waitcnt vmcnt(24)
	ds_write_b128 v89, v[20:23] offset:6480
	s_waitcnt vmcnt(23)
	ds_write_b128 v89, v[24:27] offset:7776
	s_waitcnt vmcnt(22)
	ds_write_b128 v89, v[28:31] offset:9072
	s_waitcnt vmcnt(21)
	ds_write_b128 v89, v[32:35] offset:10368
	s_waitcnt vmcnt(20)
	ds_write_b128 v89, v[36:39] offset:11664
	s_waitcnt vmcnt(19)
	ds_write_b128 v89, v[40:43] offset:12960
	s_waitcnt vmcnt(18)
	ds_write_b128 v89, v[44:47] offset:14256
	s_waitcnt vmcnt(17)
	ds_write_b128 v89, v[48:51] offset:15552
	s_waitcnt vmcnt(16)
	ds_write_b128 v89, v[52:55] offset:16848
	s_waitcnt vmcnt(15)
	ds_write_b128 v89, v[56:59] offset:18144
	s_waitcnt vmcnt(14)
	ds_write_b128 v89, v[60:63] offset:19440
	s_waitcnt vmcnt(13)
	ds_write_b128 v89, v[64:67] offset:20736
	s_waitcnt vmcnt(12)
	ds_write_b128 v89, v[68:71] offset:22032
	s_waitcnt vmcnt(11)
	ds_write_b128 v89, v[72:75] offset:23328
	s_waitcnt vmcnt(10)
	ds_write_b128 v89, v[76:79] offset:24624
	s_waitcnt vmcnt(9)
	ds_write_b128 v89, v[80:83] offset:25920
	s_waitcnt vmcnt(8)
	ds_write_b128 v89, v[84:87] offset:27216
	s_waitcnt vmcnt(7)
	ds_write_b128 v89, v[102:105] offset:28512
	s_waitcnt vmcnt(6)
	ds_write_b128 v89, v[106:109] offset:29808
	s_waitcnt vmcnt(5)
	ds_write_b128 v89, v[110:113] offset:31104
	s_waitcnt vmcnt(4)
	ds_write_b128 v89, v[114:117] offset:32400
	s_waitcnt vmcnt(3)
	ds_write_b128 v89, v[118:121] offset:33696
	s_waitcnt vmcnt(2)
	ds_write_b128 v89, v[122:125] offset:34992
	s_waitcnt vmcnt(1)
	ds_write_b128 v89, v[126:129] offset:36288
	s_waitcnt vmcnt(0)
	ds_write_b128 v89, v[130:133] offset:37584
.LBB0_13:
	s_or_b32 exec_lo, exec_lo, s1
	v_lshlrev_b32_e32 v89, 4, v88
	s_waitcnt lgkmcnt(0)
	s_barrier
	buffer_gl0_inv
	s_mov_b32 s12, 0x134454ff
	v_add_nc_u32_e32 v104, 0, v89
	s_mov_b32 s13, 0xbfee6f0e
	s_mov_b32 s7, 0x3fee6f0e
	;; [unrolled: 1-line block ×4, first 2 shown]
	ds_read_b128 v[44:47], v104 offset:27216
	ds_read_b128 v[48:51], v104 offset:19440
	;; [unrolled: 1-line block ×8, first 2 shown]
	ds_read_b128 v[80:83], v104
	ds_read_b128 v[32:35], v104 offset:1296
	ds_read_b128 v[84:87], v104 offset:7776
	;; [unrolled: 1-line block ×17, first 2 shown]
	s_mov_b32 s11, 0xbfe2cf23
	s_mov_b32 s5, 0x3fe2cf23
	;; [unrolled: 1-line block ×11, first 2 shown]
	v_mul_u32_u24_e32 v91, 10, v88
	s_waitcnt lgkmcnt(11)
	v_add_f64 v[137:138], v[76:77], v[56:57]
	v_add_f64 v[102:103], v[50:51], v[46:47]
	;; [unrolled: 1-line block ×4, first 2 shown]
	v_add_f64 v[125:126], v[54:55], -v[42:43]
	v_add_f64 v[127:128], v[52:53], -v[40:41]
	;; [unrolled: 1-line block ×3, first 2 shown]
	v_add_f64 v[131:132], v[52:53], v[40:41]
	v_add_f64 v[133:134], v[80:81], v[84:85]
	s_waitcnt lgkmcnt(8)
	v_add_f64 v[143:144], v[84:85], v[72:73]
	v_add_f64 v[145:146], v[78:79], v[58:59]
	;; [unrolled: 1-line block ×3, first 2 shown]
	v_add_f64 v[155:156], v[50:51], -v[46:47]
	v_add_f64 v[157:158], v[52:53], -v[48:49]
	;; [unrolled: 1-line block ×7, first 2 shown]
	v_add_f64 v[171:172], v[64:65], v[52:53]
	v_add_f64 v[54:55], v[66:67], v[54:55]
	;; [unrolled: 1-line block ×3, first 2 shown]
	v_add_f64 v[139:140], v[78:79], -v[58:59]
	v_fma_f64 v[102:103], v[102:103], -0.5, v[66:67]
	v_fma_f64 v[121:122], v[121:122], -0.5, v[64:65]
	;; [unrolled: 1-line block ×3, first 2 shown]
	v_add_f64 v[141:142], v[84:85], -v[76:77]
	v_add_f64 v[149:150], v[76:77], -v[84:85]
	;; [unrolled: 1-line block ×3, first 2 shown]
	v_fma_f64 v[64:65], v[131:132], -0.5, v[64:65]
	v_add_f64 v[153:154], v[78:79], -v[86:87]
	v_add_f64 v[86:87], v[86:87], -v[74:75]
	;; [unrolled: 1-line block ×8, first 2 shown]
	v_fma_f64 v[137:138], v[137:138], -0.5, v[80:81]
	v_fma_f64 v[80:81], v[143:144], -0.5, v[80:81]
	;; [unrolled: 1-line block ×4, first 2 shown]
	v_add_f64 v[147:148], v[159:160], v[165:166]
	v_add_f64 v[157:158], v[157:158], v[163:164]
	;; [unrolled: 1-line block ×3, first 2 shown]
	v_fma_f64 v[167:168], v[127:128], s[6:7], v[102:103]
	v_fma_f64 v[66:67], v[125:126], s[12:13], v[121:122]
	;; [unrolled: 1-line block ×5, first 2 shown]
	v_add_f64 v[76:77], v[133:134], v[76:77]
	v_fma_f64 v[163:164], v[155:156], s[6:7], v[64:65]
	v_fma_f64 v[64:65], v[155:156], s[12:13], v[64:65]
	v_add_f64 v[48:49], v[171:172], v[48:49]
	v_add_f64 v[50:51], v[54:55], v[50:51]
	;; [unrolled: 1-line block ×3, first 2 shown]
	v_fma_f64 v[121:122], v[125:126], s[6:7], v[121:122]
	v_add_f64 v[145:146], v[56:57], -v[72:73]
	v_add_f64 v[165:166], v[58:59], -v[74:75]
	v_add_f64 v[54:55], v[141:142], v[173:174]
	v_add_f64 v[52:53], v[52:53], v[177:178]
	v_fma_f64 v[133:134], v[86:87], s[12:13], v[137:138]
	v_fma_f64 v[141:142], v[139:140], s[6:7], v[80:81]
	;; [unrolled: 1-line block ×3, first 2 shown]
	v_add_f64 v[169:170], v[34:35], v[30:31]
	v_add_f64 v[171:172], v[38:39], v[26:27]
	v_lshl_add_u32 v91, v91, 4, 0
	v_fma_f64 v[159:160], v[129:130], s[4:5], v[167:168]
	v_fma_f64 v[66:67], v[155:156], s[10:11], v[66:67]
	;; [unrolled: 1-line block ×5, first 2 shown]
	v_add_f64 v[127:128], v[151:152], v[175:176]
	v_fma_f64 v[129:130], v[84:85], s[6:7], v[143:144]
	v_fma_f64 v[151:152], v[179:180], s[12:13], v[82:83]
	;; [unrolled: 1-line block ×3, first 2 shown]
	v_add_f64 v[56:57], v[76:77], v[56:57]
	v_fma_f64 v[64:65], v[125:126], s[4:5], v[64:65]
	v_add_f64 v[44:45], v[48:49], v[44:45]
	v_add_f64 v[46:47], v[50:51], v[46:47]
	;; [unrolled: 1-line block ×3, first 2 shown]
	v_fma_f64 v[48:49], v[155:156], s[4:5], v[121:122]
	v_add_f64 v[145:146], v[149:150], v[145:146]
	v_fma_f64 v[50:51], v[139:140], s[10:11], v[133:134]
	v_add_f64 v[167:168], v[32:33], v[28:29]
	v_fma_f64 v[80:81], v[86:87], s[4:5], v[80:81]
	s_waitcnt lgkmcnt(0)
	v_add_f64 v[175:176], v[115:116], -v[119:120]
	v_add_f64 v[177:178], v[30:31], -v[22:23]
	v_fma_f64 v[135:136], v[147:148], s[0:1], v[159:160]
	v_fma_f64 v[66:67], v[157:158], s[0:1], v[66:67]
	;; [unrolled: 1-line block ×8, first 2 shown]
	v_add_f64 v[123:124], v[153:154], v[165:166]
	v_fma_f64 v[102:103], v[179:180], s[4:5], v[129:130]
	v_fma_f64 v[129:130], v[86:87], s[10:11], v[141:142]
	;; [unrolled: 1-line block ×4, first 2 shown]
	v_add_f64 v[56:57], v[56:57], v[72:73]
	v_add_f64 v[44:45], v[44:45], v[40:41]
	;; [unrolled: 1-line block ×3, first 2 shown]
	ds_read_b128 v[40:43], v104 offset:12960
	v_add_f64 v[58:59], v[58:59], v[74:75]
	v_fma_f64 v[74:75], v[157:158], s[0:1], v[48:49]
	v_add_f64 v[143:144], v[109:110], v[113:114]
	v_add_f64 v[147:148], v[111:112], v[115:116]
	v_add_f64 v[157:158], v[117:118], -v[113:114]
	v_mul_f64 v[121:122], v[135:136], s[10:11]
	v_mul_f64 v[86:87], v[66:67], s[4:5]
	v_fma_f64 v[84:85], v[52:53], s[0:1], v[159:160]
	v_mul_f64 v[141:142], v[131:132], s[12:13]
	v_mul_f64 v[131:132], v[131:132], s[0:1]
	v_fma_f64 v[52:53], v[52:53], s[0:1], v[64:65]
	v_mul_f64 v[64:65], v[76:77], s[12:13]
	v_mul_f64 v[72:73], v[76:77], s[16:17]
	v_fma_f64 v[76:77], v[139:140], s[4:5], v[125:126]
	v_fma_f64 v[125:126], v[179:180], s[10:11], v[137:138]
	v_mul_f64 v[139:140], v[78:79], s[10:11]
	v_mul_f64 v[78:79], v[78:79], s[18:19]
	v_fma_f64 v[137:138], v[54:55], s[0:1], v[50:51]
	v_fma_f64 v[102:103], v[127:128], s[0:1], v[102:103]
	;; [unrolled: 1-line block ×5, first 2 shown]
	s_waitcnt lgkmcnt(0)
	v_add_f64 v[155:156], v[42:43], v[119:120]
	v_add_f64 v[48:49], v[56:57], v[44:45]
	v_add_f64 v[50:51], v[58:59], v[46:47]
	v_fma_f64 v[143:144], v[143:144], -0.5, v[105:106]
	v_add_f64 v[159:160], v[111:112], -v[115:116]
	v_fma_f64 v[121:122], v[66:67], s[14:15], v[121:122]
	v_fma_f64 v[86:87], v[135:136], s[14:15], v[86:87]
	v_add_f64 v[161:162], v[42:43], -v[111:112]
	v_fma_f64 v[135:136], v[84:85], s[0:1], v[141:142]
	v_fma_f64 v[84:85], v[84:85], s[6:7], v[131:132]
	;; [unrolled: 1-line block ×7, first 2 shown]
	v_add_f64 v[52:53], v[56:57], -v[44:45]
	v_fma_f64 v[153:154], v[74:75], s[4:5], v[78:79]
	v_add_f64 v[54:55], v[58:59], -v[46:47]
	v_fma_f64 v[139:140], v[74:75], s[18:19], v[139:140]
	v_add_f64 v[163:164], v[119:120], -v[115:116]
	v_add_f64 v[173:174], v[111:112], -v[42:43]
	ds_read_b128 v[64:67], v104 offset:14256
	ds_read_b128 v[44:47], v104 offset:37584
	v_fma_f64 v[155:156], v[155:156], -0.5, v[107:108]
	ds_read_b128 v[125:128], v104 offset:6480
	s_waitcnt lgkmcnt(0)
	s_barrier
	buffer_gl0_inv
	v_add_f64 v[56:57], v[137:138], v[121:122]
	v_add_f64 v[58:59], v[102:103], v[86:87]
	v_add_f64 v[72:73], v[137:138], -v[121:122]
	v_add_f64 v[74:75], v[102:103], -v[86:87]
	v_add_f64 v[78:79], v[133:134], v[84:85]
	v_add_f64 v[82:83], v[133:134], -v[84:85]
	v_add_f64 v[84:85], v[131:132], v[141:142]
	v_add_f64 v[86:87], v[123:124], v[145:146]
	v_add_f64 v[121:122], v[131:132], -v[141:142]
	v_add_f64 v[123:124], v[123:124], -v[145:146]
	;; [unrolled: 1-line block ×4, first 2 shown]
	v_fma_f64 v[141:142], v[147:148], -0.5, v[107:108]
	v_add_f64 v[145:146], v[109:110], -v[113:114]
	v_add_f64 v[147:148], v[40:41], v[117:118]
	v_add_f64 v[76:77], v[129:130], v[135:136]
	v_add_f64 v[80:81], v[129:130], -v[135:136]
	v_add_f64 v[131:132], v[151:152], v[153:154]
	v_add_f64 v[135:136], v[151:152], -v[153:154]
	;; [unrolled: 2-line block ×4, first 2 shown]
	v_add_f64 v[139:140], v[167:168], v[36:37]
	v_add_f64 v[149:150], v[169:170], v[38:39]
	;; [unrolled: 1-line block ×5, first 2 shown]
	ds_write_b128 v91, v[48:51]
	v_add_f64 v[50:51], v[28:29], v[20:21]
	v_add_f64 v[40:41], v[109:110], -v[40:41]
	ds_write_b128 v91, v[56:59] offset:16
	v_fma_f64 v[167:168], v[102:103], s[12:13], v[143:144]
	ds_write_b128 v91, v[76:79] offset:32
	ds_write_b128 v91, v[84:87] offset:48
	;; [unrolled: 1-line block ×4, first 2 shown]
	v_fma_f64 v[165:166], v[137:138], s[6:7], v[141:142]
	v_fma_f64 v[105:106], v[147:148], -0.5, v[105:106]
	v_fma_f64 v[147:148], v[145:146], s[12:13], v[155:156]
	v_add_f64 v[109:110], v[151:152], v[109:110]
	v_add_f64 v[151:152], v[153:154], v[157:158]
	v_fma_f64 v[153:154], v[145:146], s[6:7], v[155:156]
	v_add_f64 v[157:158], v[161:162], v[163:164]
	v_add_f64 v[42:43], v[42:43], v[111:112]
	;; [unrolled: 1-line block ×4, first 2 shown]
	v_add_f64 v[149:150], v[38:39], -v[26:27]
	v_add_f64 v[155:156], v[28:29], -v[20:21]
	v_fma_f64 v[163:164], v[159:160], s[10:11], v[167:168]
	v_fma_f64 v[167:168], v[169:170], -0.5, v[32:33]
	v_fma_f64 v[169:170], v[171:172], -0.5, v[34:35]
	v_add_f64 v[171:172], v[173:174], v[175:176]
	v_add_f64 v[175:176], v[36:37], -v[24:25]
	v_fma_f64 v[34:35], v[107:108], -0.5, v[34:35]
	v_fma_f64 v[32:33], v[50:51], -0.5, v[32:33]
	v_add_f64 v[111:112], v[28:29], -v[36:37]
	v_add_f64 v[28:29], v[36:37], -v[28:29]
	;; [unrolled: 1-line block ×3, first 2 shown]
	v_fma_f64 v[161:162], v[145:146], s[4:5], v[165:166]
	v_add_f64 v[165:166], v[113:114], -v[117:118]
	v_fma_f64 v[173:174], v[159:160], s[6:7], v[105:106]
	v_fma_f64 v[147:148], v[137:138], s[4:5], v[147:148]
	;; [unrolled: 1-line block ×4, first 2 shown]
	v_add_f64 v[30:31], v[38:39], -v[30:31]
	v_add_f64 v[107:108], v[22:23], -v[26:27]
	;; [unrolled: 1-line block ×3, first 2 shown]
	v_add_f64 v[42:43], v[42:43], v[115:116]
	v_add_f64 v[38:39], v[20:21], -v[24:25]
	v_add_f64 v[24:25], v[24:25], -v[20:21]
	v_add_f64 v[109:110], v[109:110], v[113:114]
	v_add_f64 v[20:21], v[48:49], v[20:21]
	;; [unrolled: 1-line block ×3, first 2 shown]
	ds_write_b128 v91, v[72:75] offset:96
	ds_write_b128 v91, v[80:83] offset:112
	;; [unrolled: 1-line block ×4, first 2 shown]
	v_fma_f64 v[121:122], v[137:138], s[12:13], v[141:142]
	v_fma_f64 v[115:116], v[175:176], s[12:13], v[34:35]
	;; [unrolled: 1-line block ×5, first 2 shown]
	v_add_f64 v[123:124], v[64:65], v[44:45]
	v_fma_f64 v[153:154], v[157:158], s[0:1], v[161:162]
	v_add_f64 v[40:41], v[40:41], v[165:166]
	v_fma_f64 v[173:174], v[102:103], s[10:11], v[173:174]
	v_fma_f64 v[147:148], v[171:172], s[0:1], v[147:148]
	;; [unrolled: 1-line block ×7, first 2 shown]
	v_add_f64 v[26:27], v[30:31], v[26:27]
	v_add_f64 v[111:112], v[111:112], v[38:39]
	;; [unrolled: 1-line block ×8, first 2 shown]
	v_fma_f64 v[30:31], v[155:156], s[4:5], v[115:116]
	v_fma_f64 v[28:29], v[177:178], s[10:11], v[113:114]
	v_fma_f64 v[32:33], v[177:178], s[4:5], v[32:33]
	v_fma_f64 v[34:35], v[155:156], s[10:11], v[34:35]
	v_add_f64 v[113:114], v[70:71], v[62:63]
	v_mul_f64 v[36:37], v[153:154], s[10:11]
	v_add_f64 v[115:116], v[68:69], v[60:61]
	v_fma_f64 v[171:172], v[40:41], s[0:1], v[173:174]
	v_mul_f64 v[173:174], v[147:148], s[12:13]
	v_mul_f64 v[147:148], v[147:148], s[0:1]
	;; [unrolled: 1-line block ×3, first 2 shown]
	v_fma_f64 v[163:164], v[149:150], s[10:11], v[163:164]
	v_fma_f64 v[165:166], v[175:176], s[4:5], v[165:166]
	;; [unrolled: 1-line block ×3, first 2 shown]
	v_mul_f64 v[48:49], v[105:106], s[12:13]
	v_mul_f64 v[50:51], v[105:106], s[16:17]
	v_add_f64 v[117:118], v[14:15], v[2:3]
	v_fma_f64 v[102:103], v[102:103], s[6:7], v[143:144]
	v_add_f64 v[129:130], v[66:67], -v[70:71]
	v_add_f64 v[133:134], v[44:45], -v[60:61]
	;; [unrolled: 1-line block ×3, first 2 shown]
	v_fma_f64 v[141:142], v[155:156], s[12:13], v[169:170]
	v_fma_f64 v[86:87], v[26:27], s[0:1], v[30:31]
	;; [unrolled: 1-line block ×7, first 2 shown]
	v_add_f64 v[143:144], v[6:7], -v[14:15]
	v_mul_i32_i24_e32 v52, 10, v90
	v_fma_f64 v[76:77], v[171:172], s[0:1], v[173:174]
	v_fma_f64 v[78:79], v[171:172], s[6:7], v[147:148]
	;; [unrolled: 1-line block ×5, first 2 shown]
	v_lshl_add_u32 v52, v52, 4, 0
	v_fma_f64 v[80:81], v[40:41], s[16:17], v[48:49]
	v_fma_f64 v[82:83], v[40:41], s[6:7], v[50:51]
	v_add_f64 v[48:49], v[20:21], v[56:57]
	v_add_f64 v[50:51], v[22:23], v[42:43]
	v_add_f64 v[20:21], v[20:21], -v[56:57]
	v_add_f64 v[22:23], v[22:23], -v[42:43]
	v_mov_b32_e32 v91, 0x1e0
	v_add_f64 v[28:29], v[84:85], v[76:77]
	v_add_f64 v[30:31], v[86:87], v[78:79]
	v_add_f64 v[34:35], v[86:87], -v[78:79]
	v_add_f64 v[78:79], v[127:128], v[66:67]
	v_add_f64 v[53:54], v[58:59], v[36:37]
	;; [unrolled: 1-line block ×3, first 2 shown]
	v_add_f64 v[24:25], v[58:59], -v[36:37]
	v_add_f64 v[26:27], v[105:106], -v[38:39]
	v_add_f64 v[57:58], v[12:13], v[0:1]
	v_add_f64 v[105:106], v[6:7], v[10:11]
	v_add_f64 v[32:33], v[84:85], -v[76:77]
	v_add_f64 v[40:41], v[72:73], v[80:81]
	v_add_f64 v[42:43], v[74:75], v[82:83]
	;; [unrolled: 1-line block ×3, first 2 shown]
	v_add_f64 v[36:37], v[72:73], -v[80:81]
	v_add_f64 v[38:39], v[74:75], -v[82:83]
	v_fma_f64 v[74:75], v[109:110], -0.5, v[16:17]
	v_fma_f64 v[80:81], v[113:114], -0.5, v[127:128]
	v_fma_f64 v[82:83], v[115:116], -0.5, v[125:126]
	v_add_f64 v[84:85], v[64:65], -v[44:45]
	v_fma_f64 v[109:110], v[119:120], -0.5, v[127:128]
	v_add_f64 v[113:114], v[68:69], -v[60:61]
	v_fma_f64 v[115:116], v[145:146], s[10:11], v[121:122]
	v_add_f64 v[86:87], v[66:67], -v[46:47]
	v_add_f64 v[72:73], v[16:17], v[12:13]
	v_add_f64 v[78:79], v[78:79], v[70:71]
	v_fma_f64 v[119:120], v[123:124], -0.5, v[125:126]
	v_add_f64 v[125:126], v[70:71], -v[62:63]
	v_add_f64 v[127:128], v[64:65], -v[68:69]
	;; [unrolled: 1-line block ×3, first 2 shown]
	v_fma_f64 v[16:17], v[57:58], -0.5, v[16:17]
	v_fma_f64 v[57:58], v[105:106], -0.5, v[18:19]
	;; [unrolled: 1-line block ×3, first 2 shown]
	v_add_f64 v[18:19], v[18:19], v[14:15]
	v_fma_f64 v[70:71], v[159:160], s[4:5], v[102:103]
	v_add_f64 v[76:77], v[76:77], v[68:69]
	v_add_f64 v[102:103], v[62:63], -v[46:47]
	v_add_f64 v[64:65], v[68:69], -v[64:65]
	;; [unrolled: 1-line block ×5, first 2 shown]
	v_fma_f64 v[137:138], v[84:85], s[6:7], v[80:81]
	v_add_f64 v[14:15], v[14:15], -v[2:3]
	v_fma_f64 v[145:146], v[113:114], s[12:13], v[109:110]
	v_fma_f64 v[115:116], v[157:158], s[0:1], v[115:116]
	;; [unrolled: 1-line block ×4, first 2 shown]
	v_add_f64 v[62:63], v[78:79], v[62:63]
	v_fma_f64 v[78:79], v[84:85], s[12:13], v[80:81]
	v_add_f64 v[72:73], v[72:73], v[4:5]
	v_add_f64 v[109:110], v[127:128], v[133:134]
	;; [unrolled: 1-line block ×3, first 2 shown]
	v_fma_f64 v[133:134], v[175:176], s[10:11], v[141:142]
	v_add_f64 v[4:5], v[4:5], -v[8:9]
	v_fma_f64 v[80:81], v[149:150], s[4:5], v[131:132]
	v_add_f64 v[18:19], v[18:19], v[6:7]
	v_add_f64 v[6:7], v[6:7], -v[10:11]
	v_add_f64 v[76:77], v[76:77], v[60:61]
	v_add_f64 v[59:60], v[60:61], -v[44:45]
	v_fma_f64 v[70:71], v[151:152], s[0:1], v[70:71]
	v_add_f64 v[66:67], v[66:67], v[102:103]
	v_fma_f64 v[102:103], v[125:126], s[6:7], v[119:120]
	v_fma_f64 v[119:120], v[125:126], s[12:13], v[119:120]
	;; [unrolled: 1-line block ×3, first 2 shown]
	v_add_f64 v[12:13], v[12:13], -v[0:1]
	v_fma_f64 v[135:136], v[84:85], s[4:5], v[145:146]
	v_mul_f64 v[137:138], v[115:116], s[10:11]
	v_fma_f64 v[131:132], v[125:126], s[10:11], v[139:140]
	v_fma_f64 v[68:69], v[84:85], s[10:11], v[68:69]
	v_mul_f64 v[84:85], v[115:116], s[18:19]
	v_fma_f64 v[82:83], v[86:87], s[6:7], v[82:83]
	v_fma_f64 v[78:79], v[113:114], s[10:11], v[78:79]
	v_add_f64 v[72:73], v[72:73], v[8:9]
	v_add_f64 v[139:140], v[0:1], -v[8:9]
	v_add_f64 v[8:9], v[8:9], -v[0:1]
	;; [unrolled: 1-line block ×3, first 2 shown]
	v_fma_f64 v[107:108], v[107:108], s[0:1], v[133:134]
	v_add_f64 v[18:19], v[18:19], v[10:11]
	v_add_f64 v[10:11], v[10:11], -v[2:3]
	v_fma_f64 v[80:81], v[111:112], s[0:1], v[80:81]
	v_add_f64 v[59:60], v[64:65], v[59:60]
	v_add_f64 v[46:47], v[62:63], v[46:47]
	;; [unrolled: 1-line block ×3, first 2 shown]
	v_fma_f64 v[64:65], v[86:87], s[10:11], v[102:103]
	v_fma_f64 v[86:87], v[86:87], s[4:5], v[119:120]
	;; [unrolled: 1-line block ×18, first 2 shown]
	v_add_f64 v[8:9], v[121:122], v[8:9]
	v_add_f64 v[10:11], v[143:144], v[10:11]
	;; [unrolled: 1-line block ×4, first 2 shown]
	v_fma_f64 v[64:65], v[59:60], s[0:1], v[64:65]
	v_add_f64 v[72:73], v[72:73], v[0:1]
	v_mul_f64 v[113:114], v[111:112], s[10:11]
	v_fma_f64 v[119:120], v[6:7], s[10:11], v[129:130]
	v_mul_f64 v[121:122], v[102:103], s[12:13]
	v_mul_f64 v[102:103], v[102:103], s[0:1]
	v_fma_f64 v[125:126], v[14:15], s[10:11], v[135:136]
	v_fma_f64 v[127:128], v[12:13], s[4:5], v[137:138]
	v_mul_f64 v[117:118], v[115:116], s[4:5]
	v_fma_f64 v[14:15], v[14:15], s[4:5], v[16:17]
	v_fma_f64 v[12:13], v[12:13], s[10:11], v[105:106]
	v_fma_f64 v[16:17], v[59:60], s[0:1], v[86:87]
	v_mul_f64 v[59:60], v[66:67], s[12:13]
	v_mul_f64 v[66:67], v[66:67], s[16:17]
	v_fma_f64 v[123:124], v[4:5], s[4:5], v[131:132]
	v_fma_f64 v[6:7], v[6:7], s[4:5], v[70:71]
	;; [unrolled: 1-line block ×4, first 2 shown]
	v_mul_f64 v[70:71], v[78:79], s[10:11]
	v_mul_f64 v[74:75], v[78:79], s[18:19]
	v_add_f64 v[18:19], v[18:19], v[2:3]
	v_add_f64 v[0:1], v[80:81], v[133:134]
	;; [unrolled: 1-line block ×3, first 2 shown]
	ds_write_b128 v52, v[48:51]
	ds_write_b128 v52, v[53:56] offset:16
	v_fma_f64 v[61:62], v[115:116], s[14:15], v[113:114]
	v_fma_f64 v[78:79], v[82:83], s[0:1], v[119:120]
	;; [unrolled: 1-line block ×9, first 2 shown]
	v_add_f64 v[8:9], v[72:73], v[44:45]
	v_fma_f64 v[115:116], v[16:17], s[16:17], v[59:60]
	v_fma_f64 v[65:66], v[16:17], s[6:7], v[66:67]
	;; [unrolled: 1-line block ×5, first 2 shown]
	v_add_f64 v[4:5], v[80:81], -v[133:134]
	v_fma_f64 v[117:118], v[57:58], s[18:19], v[70:71]
	v_fma_f64 v[119:120], v[57:58], s[4:5], v[74:75]
	v_add_f64 v[6:7], v[107:108], -v[68:69]
	v_add_f64 v[12:13], v[72:73], -v[44:45]
	v_add_f64 v[10:11], v[18:19], v[46:47]
	v_add_f64 v[14:15], v[18:19], -v[46:47]
	ds_write_b128 v52, v[28:31] offset:32
	ds_write_b128 v52, v[40:43] offset:48
	v_add_f64 v[16:17], v[78:79], v[61:62]
	v_add_f64 v[44:45], v[78:79], -v[61:62]
	ds_write_b128 v52, v[0:3] offset:64
	v_add_f64 v[57:58], v[102:103], v[105:106]
	v_add_f64 v[59:60], v[109:110], v[63:64]
	v_add_f64 v[70:71], v[109:110], -v[63:64]
	v_add_f64 v[68:69], v[102:103], -v[105:106]
	v_mul_i32_i24_e32 v28, 10, v101
	v_and_b32_e32 v67, 0xff, v90
	v_add_f64 v[61:62], v[111:112], v[115:116]
	v_add_f64 v[63:64], v[113:114], v[65:66]
	;; [unrolled: 1-line block ×3, first 2 shown]
	v_add_f64 v[46:47], v[86:87], -v[76:77]
	v_add_f64 v[74:75], v[113:114], -v[65:66]
	v_and_b32_e32 v66, 0xff, v88
	v_add_f64 v[76:77], v[82:83], v[117:118]
	v_add_f64 v[78:79], v[84:85], v[119:120]
	v_add_f64 v[72:73], v[111:112], -v[115:116]
	v_add_f64 v[80:81], v[82:83], -v[117:118]
	v_mul_lo_u16 v0, 0xcd, v66
	v_add_f64 v[82:83], v[84:85], -v[119:120]
	v_lshl_add_u32 v53, v28, 4, 0
	ds_write_b128 v52, v[20:23] offset:80
	ds_write_b128 v52, v[24:27] offset:96
	;; [unrolled: 1-line block ×3, first 2 shown]
	v_lshrrev_b16 v54, 11, v0
	ds_write_b128 v52, v[36:39] offset:128
	ds_write_b128 v52, v[4:7] offset:144
	ds_write_b128 v53, v[8:11]
	ds_write_b128 v53, v[16:19] offset:16
	v_mul_lo_u16 v0, v54, 10
	ds_write_b128 v53, v[57:60] offset:32
	ds_write_b128 v53, v[61:64] offset:48
	;; [unrolled: 1-line block ×3, first 2 shown]
	v_sub_nc_u16 v55, v88, v0
	v_mov_b32_e32 v64, 5
	v_mul_lo_u16 v0, 0xcd, v67
	v_and_b32_e32 v65, 0xff, v101
	ds_write_b128 v53, v[12:15] offset:80
	ds_write_b128 v53, v[44:47] offset:96
	v_lshlrev_b32_sdwa v1, v64, v55 dst_sel:DWORD dst_unused:UNUSED_PAD src0_sel:DWORD src1_sel:BYTE_0
	ds_write_b128 v53, v[68:71] offset:112
	ds_write_b128 v53, v[72:75] offset:128
	;; [unrolled: 1-line block ×3, first 2 shown]
	v_lshrrev_b16 v80, 11, v0
	v_mul_lo_u16 v2, 0xcd, v65
	s_waitcnt lgkmcnt(0)
	s_barrier
	buffer_gl0_inv
	s_clause 0x1
	global_load_dwordx4 v[56:59], v1, s[8:9]
	global_load_dwordx4 v[60:63], v1, s[8:9] offset:16
	v_mul_lo_u16 v0, v80, 10
	v_lshrrev_b16 v77, 11, v2
	v_mov_b32_e32 v28, 0xcccd
	s_mov_b32 s4, 0xe8584caa
	s_mov_b32 s5, 0xbfebb67a
	v_sub_nc_u16 v85, v90, v0
	v_mul_lo_u16 v2, v77, 10
	v_mul_u32_u24_sdwa v1, v100, v28 dst_sel:DWORD dst_unused:UNUSED_PAD src0_sel:WORD_0 src1_sel:DWORD
	v_mul_u32_u24_sdwa v13, v97, v28 dst_sel:DWORD dst_unused:UNUSED_PAD src0_sel:WORD_0 src1_sel:DWORD
	;; [unrolled: 1-line block ×3, first 2 shown]
	v_lshlrev_b32_sdwa v0, v64, v85 dst_sel:DWORD dst_unused:UNUSED_PAD src0_sel:DWORD src1_sel:BYTE_0
	v_sub_nc_u16 v84, v101, v2
	v_lshrrev_b32_e32 v75, 19, v1
	v_mul_u32_u24_sdwa v1, v99, v28 dst_sel:DWORD dst_unused:UNUSED_PAD src0_sel:WORD_0 src1_sel:DWORD
	v_lshrrev_b32_e32 v73, 19, v13
	s_clause 0x1
	global_load_dwordx4 v[105:108], v0, s[8:9]
	global_load_dwordx4 v[109:112], v0, s[8:9] offset:16
	v_lshlrev_b32_sdwa v0, v64, v84 dst_sel:DWORD dst_unused:UNUSED_PAD src0_sel:DWORD src1_sel:BYTE_0
	v_lshrrev_b32_e32 v74, 19, v1
	v_mul_lo_u16 v2, v75, 10
	v_mul_lo_u16 v17, v73, 10
	v_lshrrev_b32_e32 v72, 19, v20
	s_clause 0x1
	global_load_dwordx4 v[113:116], v0, s[8:9]
	global_load_dwordx4 v[117:120], v0, s[8:9] offset:16
	v_mul_lo_u16 v1, v74, 10
	v_sub_nc_u16 v82, v100, v2
	v_mul_u32_u24_sdwa v0, v98, v28 dst_sel:DWORD dst_unused:UNUSED_PAD src0_sel:WORD_0 src1_sel:DWORD
	v_sub_nc_u16 v81, v97, v17
	v_mul_lo_u16 v29, v72, 10
	v_sub_nc_u16 v76, v99, v1
	v_lshlrev_b32_sdwa v2, v64, v82 dst_sel:DWORD dst_unused:UNUSED_PAD src0_sel:DWORD src1_sel:WORD_0
	v_lshrrev_b32_e32 v78, 19, v0
	v_lshlrev_b32_sdwa v24, v64, v81 dst_sel:DWORD dst_unused:UNUSED_PAD src0_sel:DWORD src1_sel:WORD_0
	v_sub_nc_u16 v79, v96, v29
	v_lshlrev_b32_sdwa v4, v64, v76 dst_sel:DWORD dst_unused:UNUSED_PAD src0_sel:DWORD src1_sel:WORD_0
	s_clause 0x2
	global_load_dwordx4 v[121:124], v2, s[8:9]
	global_load_dwordx4 v[8:11], v2, s[8:9] offset:16
	global_load_dwordx4 v[0:3], v4, s[8:9]
	v_mul_lo_u16 v12, v78, 10
	global_load_dwordx4 v[4:7], v4, s[8:9] offset:16
	v_mul_u32_u24_sdwa v30, v95, v28 dst_sel:DWORD dst_unused:UNUSED_PAD src0_sel:WORD_0 src1_sel:DWORD
	s_clause 0x1
	global_load_dwordx4 v[20:23], v24, s[8:9]
	global_load_dwordx4 v[24:27], v24, s[8:9] offset:16
	v_sub_nc_u16 v83, v98, v12
	v_mul_u32_u24_sdwa v28, v94, v28 dst_sel:DWORD dst_unused:UNUSED_PAD src0_sel:WORD_0 src1_sel:DWORD
	v_lshlrev_b32_sdwa v29, v64, v79 dst_sel:DWORD dst_unused:UNUSED_PAD src0_sel:DWORD src1_sel:WORD_0
	v_lshrrev_b32_e32 v68, 19, v30
	s_mov_b32 s7, 0x3febb67a
	v_lshlrev_b32_sdwa v16, v64, v83 dst_sel:DWORD dst_unused:UNUSED_PAD src0_sel:DWORD src1_sel:WORD_0
	v_lshrrev_b32_e32 v69, 19, v28
	global_load_dwordx4 v[36:39], v29, s[8:9]
	v_mul_lo_u16 v30, v68, 10
	s_clause 0x2
	global_load_dwordx4 v[32:35], v29, s[8:9] offset:16
	global_load_dwordx4 v[12:15], v16, s[8:9]
	global_load_dwordx4 v[16:19], v16, s[8:9] offset:16
	v_mul_lo_u16 v28, v69, 10
	v_sub_nc_u16 v71, v95, v30
	s_mov_b32 s6, s4
	v_mul_u32_u24_sdwa v80, v80, v91 dst_sel:DWORD dst_unused:UNUSED_PAD src0_sel:WORD_0 src1_sel:DWORD
	v_mul_u32_u24_sdwa v77, v77, v91 dst_sel:DWORD dst_unused:UNUSED_PAD src0_sel:WORD_0 src1_sel:DWORD
	v_sub_nc_u16 v70, v94, v28
	v_lshlrev_b32_sdwa v28, v64, v71 dst_sel:DWORD dst_unused:UNUSED_PAD src0_sel:DWORD src1_sel:WORD_0
	v_mul_u32_u24_e32 v78, 0x1e0, v78
	v_mul_u32_u24_e32 v73, 0x1e0, v73
	v_cmp_gt_u32_e64 s0, 9, v88
	v_lshlrev_b32_sdwa v48, v64, v70 dst_sel:DWORD dst_unused:UNUSED_PAD src0_sel:DWORD src1_sel:WORD_0
	s_clause 0x3
	global_load_dwordx4 v[40:43], v28, s[8:9]
	global_load_dwordx4 v[28:31], v28, s[8:9] offset:16
	global_load_dwordx4 v[44:47], v48, s[8:9]
	global_load_dwordx4 v[48:51], v48, s[8:9] offset:16
	ds_read_b128 v[125:128], v104 offset:12960
	ds_read_b128 v[129:132], v104 offset:25920
	;; [unrolled: 1-line block ×4, first 2 shown]
	ds_read_b128 v[141:144], v104
	ds_read_b128 v[145:148], v104 offset:15552
	ds_read_b128 v[149:152], v104 offset:24624
	ds_read_b128 v[153:156], v104 offset:28512
	ds_read_b128 v[157:160], v104 offset:16848
	ds_read_b128 v[161:164], v104 offset:18144
	s_add_u32 s1, s8, 0x9740
	ds_read_b128 v[165:168], v104 offset:31104
	s_waitcnt vmcnt(19) lgkmcnt(10)
	v_mul_f64 v[86:87], v[127:128], v[58:59]
	v_mul_f64 v[58:59], v[125:126], v[58:59]
	s_waitcnt vmcnt(18) lgkmcnt(9)
	v_mul_f64 v[102:103], v[131:132], v[62:63]
	v_mul_f64 v[62:63], v[129:130], v[62:63]
	s_waitcnt vmcnt(17) lgkmcnt(8)
	v_mul_f64 v[169:170], v[135:136], v[107:108]
	s_waitcnt vmcnt(16) lgkmcnt(7)
	v_mul_f64 v[171:172], v[139:140], v[111:112]
	v_mul_f64 v[111:112], v[137:138], v[111:112]
	;; [unrolled: 1-line block ×3, first 2 shown]
	v_fma_f64 v[86:87], v[125:126], v[56:57], v[86:87]
	v_fma_f64 v[56:57], v[127:128], v[56:57], -v[58:59]
	s_waitcnt vmcnt(15) lgkmcnt(5)
	v_mul_f64 v[58:59], v[147:148], v[115:116]
	v_mul_f64 v[115:116], v[145:146], v[115:116]
	ds_read_b128 v[125:128], v104 offset:29808
	v_fma_f64 v[102:103], v[129:130], v[60:61], v[102:103]
	v_fma_f64 v[129:130], v[131:132], v[60:61], -v[62:63]
	ds_read_b128 v[60:63], v104 offset:19440
	v_fma_f64 v[133:134], v[133:134], v[105:106], v[169:170]
	v_fma_f64 v[137:138], v[137:138], v[109:110], v[171:172]
	v_fma_f64 v[139:140], v[139:140], v[109:110], -v[111:112]
	ds_read_b128 v[109:112], v104 offset:20736
	s_waitcnt vmcnt(14) lgkmcnt(6)
	v_mul_f64 v[131:132], v[155:156], v[119:120]
	v_mul_f64 v[119:120], v[153:154], v[119:120]
	v_fma_f64 v[135:136], v[135:136], v[105:106], -v[107:108]
	s_waitcnt vmcnt(12) lgkmcnt(2)
	v_mul_f64 v[171:172], v[127:128], v[10:11]
	v_mul_f64 v[10:11], v[125:126], v[10:11]
	v_fma_f64 v[145:146], v[145:146], v[113:114], v[58:59]
	v_fma_f64 v[147:148], v[147:148], v[113:114], -v[115:116]
	ds_read_b128 v[113:116], v104 offset:33696
	v_mul_f64 v[169:170], v[159:160], v[123:124]
	v_mul_f64 v[123:124], v[157:158], v[123:124]
	s_waitcnt vmcnt(11)
	v_mul_f64 v[173:174], v[163:164], v[2:3]
	v_mul_f64 v[175:176], v[161:162], v[2:3]
	ds_read_b128 v[105:108], v104 offset:32400
	s_waitcnt vmcnt(10)
	v_mul_f64 v[177:178], v[167:168], v[6:7]
	v_mul_f64 v[179:180], v[165:166], v[6:7]
	v_lshl_add_u32 v59, v100, 4, 0
	v_lshl_add_u32 v58, v98, 4, 0
	v_fma_f64 v[131:132], v[153:154], v[117:118], v[131:132]
	v_fma_f64 v[153:154], v[155:156], v[117:118], -v[119:120]
	s_waitcnt vmcnt(5) lgkmcnt(3)
	v_mul_f64 v[155:156], v[62:63], v[14:15]
	v_mul_f64 v[14:15], v[60:61], v[14:15]
	v_fma_f64 v[2:3], v[157:158], v[121:122], v[169:170]
	v_fma_f64 v[6:7], v[159:160], v[121:122], -v[123:124]
	v_fma_f64 v[157:158], v[125:126], v[8:9], v[171:172]
	v_fma_f64 v[159:160], v[127:128], v[8:9], -v[10:11]
	ds_read_b128 v[8:11], v104 offset:22032
	ds_read_b128 v[117:120], v59
	s_waitcnt vmcnt(4) lgkmcnt(2)
	v_mul_f64 v[169:170], v[107:108], v[18:19]
	v_mul_f64 v[18:19], v[105:106], v[18:19]
	v_fma_f64 v[161:162], v[161:162], v[0:1], v[173:174]
	v_fma_f64 v[163:164], v[163:164], v[0:1], -v[175:176]
	v_fma_f64 v[165:166], v[165:166], v[4:5], v[177:178]
	v_fma_f64 v[167:168], v[167:168], v[4:5], -v[179:180]
	v_mul_f64 v[0:1], v[111:112], v[22:23]
	v_mul_f64 v[4:5], v[109:110], v[22:23]
	;; [unrolled: 1-line block ×4, first 2 shown]
	ds_read_b128 v[121:124], v104 offset:34992
	v_fma_f64 v[155:156], v[60:61], v[12:13], v[155:156]
	ds_read_b128 v[125:128], v104 offset:23328
	v_fma_f64 v[171:172], v[62:63], v[12:13], -v[14:15]
	ds_read_b128 v[12:15], v104 offset:36288
	v_mad_i32_i24 v62, 0xffffff70, v90, v52
	v_mov_b32_e32 v63, 4
	s_waitcnt lgkmcnt(4)
	v_mul_f64 v[60:61], v[10:11], v[38:39]
	v_mul_f64 v[38:39], v[8:9], v[38:39]
	v_lshlrev_b32_sdwa v85, v63, v85 dst_sel:DWORD dst_unused:UNUSED_PAD src0_sel:DWORD src1_sel:BYTE_0
	v_fma_f64 v[169:170], v[105:106], v[16:17], v[169:170]
	v_fma_f64 v[173:174], v[107:108], v[16:17], -v[18:19]
	ds_read_b128 v[16:19], v104 offset:37584
	v_add3_u32 v80, 0, v80, v85
	v_fma_f64 v[175:176], v[109:110], v[20:21], v[0:1]
	v_fma_f64 v[177:178], v[111:112], v[20:21], -v[4:5]
	v_fma_f64 v[113:114], v[113:114], v[24:25], v[22:23]
	v_fma_f64 v[115:116], v[115:116], v[24:25], -v[26:27]
	s_waitcnt lgkmcnt(3)
	v_mul_f64 v[0:1], v[123:124], v[34:35]
	v_mul_f64 v[4:5], v[121:122], v[34:35]
	s_waitcnt vmcnt(3) lgkmcnt(2)
	v_mul_f64 v[20:21], v[127:128], v[42:43]
	v_mul_f64 v[22:23], v[125:126], v[42:43]
	s_waitcnt vmcnt(2) lgkmcnt(1)
	v_mul_f64 v[24:25], v[14:15], v[30:31]
	v_mul_f64 v[26:27], v[12:13], v[30:31]
	s_waitcnt vmcnt(1)
	v_mul_f64 v[30:31], v[151:152], v[46:47]
	v_add_f64 v[42:43], v[86:87], v[102:103]
	v_fma_f64 v[179:180], v[8:9], v[36:37], v[60:61]
	v_add_f64 v[8:9], v[56:57], v[129:130]
	v_mul_f64 v[34:35], v[149:150], v[46:47]
	v_fma_f64 v[181:182], v[10:11], v[36:37], -v[38:39]
	s_waitcnt vmcnt(0) lgkmcnt(0)
	v_mul_f64 v[36:37], v[16:17], v[50:51]
	v_mul_f64 v[10:11], v[18:19], v[50:51]
	v_add_f64 v[38:39], v[143:144], v[56:57]
	v_add_f64 v[46:47], v[141:142], v[86:87]
	v_mad_i32_i24 v61, 0xffffff70, v101, v53
	v_lshl_add_u32 v60, v99, 4, 0
	v_fma_f64 v[121:122], v[121:122], v[32:33], v[0:1]
	v_fma_f64 v[123:124], v[123:124], v[32:33], -v[4:5]
	v_add_f64 v[4:5], v[56:57], -v[129:130]
	v_add_f64 v[32:33], v[135:136], v[139:140]
	v_fma_f64 v[183:184], v[12:13], v[28:29], v[24:25]
	v_fma_f64 v[185:186], v[14:15], v[28:29], -v[26:27]
	v_fma_f64 v[149:150], v[149:150], v[44:45], v[30:31]
	v_fma_f64 v[0:1], v[42:43], -0.5, v[141:142]
	v_add_f64 v[30:31], v[133:134], v[137:138]
	ds_read_b128 v[12:15], v62
	v_fma_f64 v[26:27], v[8:9], -0.5, v[143:144]
	v_add_f64 v[28:29], v[86:87], -v[102:103]
	v_fma_f64 v[151:152], v[151:152], v[44:45], -v[34:35]
	v_fma_f64 v[141:142], v[18:19], v[48:49], -v[36:37]
	v_add_f64 v[34:35], v[145:146], v[131:132]
	v_add_f64 v[36:37], v[147:148], v[153:154]
	v_fma_f64 v[86:87], v[16:17], v[48:49], v[10:11]
	ds_read_b128 v[16:19], v61
	v_fma_f64 v[125:126], v[125:126], v[40:41], v[20:21]
	v_add_f64 v[10:11], v[38:39], v[129:130]
	v_add_f64 v[8:9], v[46:47], v[102:103]
	v_add_f64 v[46:47], v[135:136], -v[139:140]
	v_add_f64 v[102:103], v[133:134], -v[137:138]
	v_fma_f64 v[127:128], v[127:128], v[40:41], -v[22:23]
	v_mul_u32_u24_sdwa v38, v54, v91 dst_sel:DWORD dst_unused:UNUSED_PAD src0_sel:WORD_0 src1_sel:DWORD
	v_lshlrev_b32_sdwa v39, v63, v55 dst_sel:DWORD dst_unused:UNUSED_PAD src0_sel:DWORD src1_sel:BYTE_0
	v_add_f64 v[143:144], v[145:146], -v[131:132]
	v_lshl_add_u32 v57, v97, 4, 0
	v_lshl_add_u32 v56, v96, 4, 0
	v_fma_f64 v[20:21], v[4:5], s[4:5], v[0:1]
	v_fma_f64 v[24:25], v[4:5], s[6:7], v[0:1]
	s_waitcnt lgkmcnt(1)
	v_fma_f64 v[0:1], v[30:31], -0.5, v[12:13]
	v_add_f64 v[4:5], v[14:15], v[135:136]
	v_add_f64 v[44:45], v[12:13], v[133:134]
	v_fma_f64 v[50:51], v[32:33], -0.5, v[14:15]
	v_fma_f64 v[22:23], v[28:29], s[6:7], v[26:27]
	v_fma_f64 v[26:27], v[28:29], s[4:5], v[26:27]
	v_add3_u32 v187, 0, v38, v39
	s_waitcnt lgkmcnt(0)
	v_add_f64 v[105:106], v[18:19], v[147:148]
	v_add_f64 v[109:110], v[16:17], v[145:146]
	v_fma_f64 v[129:130], v[34:35], -0.5, v[16:17]
	v_fma_f64 v[133:134], v[36:37], -0.5, v[18:19]
	v_add_f64 v[135:136], v[147:148], -v[153:154]
	v_lshl_add_u32 v55, v95, 4, 0
	v_lshl_add_u32 v54, v94, 4, 0
	ds_read_b128 v[12:15], v60
	ds_read_b128 v[16:19], v58
	;; [unrolled: 1-line block ×6, first 2 shown]
	s_waitcnt lgkmcnt(0)
	s_barrier
	buffer_gl0_inv
	ds_write_b128 v187, v[8:11]
	v_lshlrev_b32_sdwa v91, v63, v84 dst_sel:DWORD dst_unused:UNUSED_PAD src0_sel:DWORD src1_sel:BYTE_0
	v_add_f64 v[84:85], v[163:164], v[167:168]
	v_fma_f64 v[48:49], v[46:47], s[6:7], v[0:1]
	v_add_f64 v[10:11], v[4:5], v[139:140]
	v_add_f64 v[8:9], v[44:45], v[137:138]
	v_fma_f64 v[44:45], v[46:47], s[4:5], v[0:1]
	v_fma_f64 v[46:47], v[102:103], s[6:7], v[50:51]
	v_add_f64 v[0:1], v[2:3], v[157:158]
	v_add_f64 v[4:5], v[6:7], v[159:160]
	v_fma_f64 v[50:51], v[102:103], s[4:5], v[50:51]
	ds_write_b128 v187, v[20:23] offset:160
	v_add_f64 v[20:21], v[119:120], v[6:7]
	v_add_f64 v[22:23], v[117:118], v[2:3]
	;; [unrolled: 1-line block ×5, first 2 shown]
	ds_write_b128 v187, v[24:27] offset:320
	v_add_f64 v[24:25], v[155:156], v[169:170]
	v_add_f64 v[26:27], v[171:172], v[173:174]
	v_fma_f64 v[109:110], v[135:136], s[4:5], v[129:130]
	v_fma_f64 v[111:112], v[143:144], s[6:7], v[133:134]
	v_add_f64 v[6:7], v[6:7], -v[159:160]
	v_fma_f64 v[84:85], v[84:85], -0.5, v[14:15]
	v_add3_u32 v77, 0, v77, v91
	v_lshlrev_b32_sdwa v91, v63, v83 dst_sel:DWORD dst_unused:UNUSED_PAD src0_sel:DWORD src1_sel:WORD_0
	ds_write_b128 v80, v[8:11]
	ds_write_b128 v80, v[44:47] offset:160
	ds_write_b128 v80, v[48:51] offset:320
	v_fma_f64 v[8:9], v[135:136], s[6:7], v[129:130]
	v_fma_f64 v[10:11], v[143:144], s[4:5], v[133:134]
	v_fma_f64 v[44:45], v[0:1], -0.5, v[117:118]
	v_fma_f64 v[46:47], v[4:5], -0.5, v[119:120]
	v_add_f64 v[48:49], v[2:3], -v[157:158]
	v_add_f64 v[2:3], v[20:21], v[159:160]
	v_add_f64 v[0:1], v[22:23], v[157:158]
	v_fma_f64 v[20:21], v[102:103], -0.5, v[12:13]
	v_add_f64 v[22:23], v[14:15], v[163:164]
	v_add_f64 v[12:13], v[12:13], v[161:162]
	v_add_f64 v[50:51], v[163:164], -v[167:168]
	v_add_f64 v[102:103], v[161:162], -v[165:166]
	ds_write_b128 v77, v[105:108]
	v_fma_f64 v[105:106], v[24:25], -0.5, v[16:17]
	v_fma_f64 v[107:108], v[26:27], -0.5, v[18:19]
	v_add_f64 v[24:25], v[18:19], v[171:172]
	v_add_f64 v[26:27], v[16:17], v[155:156]
	v_mul_u32_u24_e32 v14, 0x1e0, v75
	v_lshlrev_b32_sdwa v15, v63, v82 dst_sel:DWORD dst_unused:UNUSED_PAD src0_sel:DWORD src1_sel:WORD_0
	v_add_f64 v[117:118], v[175:176], v[113:114]
	ds_write_b128 v77, v[109:112] offset:160
	v_add_f64 v[109:110], v[171:172], -v[173:174]
	v_add_f64 v[111:112], v[155:156], -v[169:170]
	v_add_f64 v[119:120], v[177:178], v[115:116]
	ds_write_b128 v77, v[8:11] offset:320
	v_fma_f64 v[4:5], v[6:7], s[4:5], v[44:45]
	v_add3_u32 v80, 0, v14, v15
	v_fma_f64 v[8:9], v[6:7], s[6:7], v[44:45]
	v_fma_f64 v[6:7], v[48:49], s[6:7], v[46:47]
	;; [unrolled: 1-line block ×3, first 2 shown]
	v_add_f64 v[82:83], v[179:180], v[121:122]
	ds_write_b128 v80, v[0:3]
	v_add_f64 v[2:3], v[22:23], v[167:168]
	v_add_f64 v[0:1], v[12:13], v[165:166]
	v_fma_f64 v[12:13], v[50:51], s[4:5], v[20:21]
	v_fma_f64 v[14:15], v[102:103], s[6:7], v[84:85]
	;; [unrolled: 1-line block ×4, first 2 shown]
	v_mul_u32_u24_e32 v84, 0x1e0, v74
	v_lshlrev_b32_sdwa v85, v63, v76 dst_sel:DWORD dst_unused:UNUSED_PAD src0_sel:DWORD src1_sel:WORD_0
	v_add_f64 v[22:23], v[24:25], v[173:174]
	v_add_f64 v[20:21], v[26:27], v[169:170]
	v_fma_f64 v[48:49], v[117:118], -0.5, v[28:29]
	v_add_f64 v[50:51], v[30:31], v[177:178]
	v_add_f64 v[28:29], v[28:29], v[175:176]
	v_fma_f64 v[24:25], v[109:110], s[4:5], v[105:106]
	v_fma_f64 v[26:27], v[111:112], s[6:7], v[107:108]
	v_fma_f64 v[30:31], v[119:120], -0.5, v[30:31]
	v_add_f64 v[74:75], v[177:178], -v[115:116]
	v_add_f64 v[76:77], v[175:176], -v[113:114]
	v_fma_f64 v[44:45], v[109:110], s[6:7], v[105:106]
	v_fma_f64 v[46:47], v[111:112], s[4:5], v[107:108]
	ds_write_b128 v80, v[4:7] offset:160
	v_add3_u32 v4, 0, v84, v85
	ds_write_b128 v80, v[8:11] offset:320
	v_add_f64 v[8:9], v[181:182], v[123:124]
	v_add_f64 v[10:11], v[125:126], v[183:184]
	ds_write_b128 v4, v[0:3]
	ds_write_b128 v4, v[12:15] offset:160
	ds_write_b128 v4, v[16:19] offset:320
	v_add_f64 v[12:13], v[127:128], v[185:186]
	v_add_f64 v[14:15], v[149:150], v[86:87]
	;; [unrolled: 1-line block ×3, first 2 shown]
	v_add3_u32 v5, 0, v78, v91
	v_lshlrev_b32_sdwa v78, v63, v81 dst_sel:DWORD dst_unused:UNUSED_PAD src0_sel:DWORD src1_sel:WORD_0
	v_fma_f64 v[18:19], v[82:83], -0.5, v[32:33]
	v_add_f64 v[2:3], v[50:51], v[115:116]
	v_add_f64 v[0:1], v[28:29], v[113:114]
	ds_write_b128 v5, v[20:23]
	v_add_f64 v[20:21], v[34:35], v[181:182]
	v_add_f64 v[22:23], v[32:33], v[179:180]
	ds_write_b128 v5, v[24:27] offset:160
	ds_write_b128 v5, v[44:47] offset:320
	v_fma_f64 v[4:5], v[74:75], s[4:5], v[48:49]
	v_fma_f64 v[6:7], v[76:77], s[6:7], v[30:31]
	v_add_f64 v[24:25], v[181:182], -v[123:124]
	v_add_f64 v[28:29], v[179:180], -v[121:122]
	v_fma_f64 v[26:27], v[8:9], -0.5, v[34:35]
	v_fma_f64 v[32:33], v[10:11], -0.5, v[36:37]
	v_add_f64 v[34:35], v[38:39], v[127:128]
	v_add_f64 v[36:37], v[36:37], v[125:126]
	v_add_f64 v[44:45], v[127:128], -v[185:186]
	v_fma_f64 v[38:39], v[12:13], -0.5, v[38:39]
	v_add_f64 v[46:47], v[125:126], -v[183:184]
	v_fma_f64 v[50:51], v[14:15], -0.5, v[40:41]
	v_add_f64 v[80:81], v[42:43], v[151:152]
	v_add_f64 v[82:83], v[151:152], -v[141:142]
	v_fma_f64 v[42:43], v[16:17], -0.5, v[42:43]
	v_add_f64 v[84:85], v[149:150], -v[86:87]
	v_add_f64 v[40:41], v[40:41], v[149:150]
	v_add3_u32 v73, 0, v73, v78
	v_fma_f64 v[8:9], v[74:75], s[6:7], v[48:49]
	v_fma_f64 v[10:11], v[76:77], s[4:5], v[30:31]
	ds_write_b128 v73, v[0:3]
	ds_write_b128 v73, v[4:7] offset:160
	v_add_f64 v[2:3], v[20:21], v[123:124]
	v_add_f64 v[0:1], v[22:23], v[121:122]
	v_fma_f64 v[4:5], v[24:25], s[4:5], v[18:19]
	v_fma_f64 v[12:13], v[24:25], s[6:7], v[18:19]
	;; [unrolled: 1-line block ×4, first 2 shown]
	v_add_f64 v[18:19], v[34:35], v[185:186]
	v_add_f64 v[16:17], v[36:37], v[183:184]
	v_fma_f64 v[20:21], v[44:45], s[4:5], v[32:33]
	v_fma_f64 v[24:25], v[44:45], s[6:7], v[32:33]
	;; [unrolled: 1-line block ×8, first 2 shown]
	v_add_f64 v[30:31], v[80:81], v[141:142]
	v_add_f64 v[28:29], v[40:41], v[86:87]
	v_mul_u32_u24_e32 v40, 0x1e0, v72
	v_lshlrev_b32_sdwa v41, v63, v79 dst_sel:DWORD dst_unused:UNUSED_PAD src0_sel:DWORD src1_sel:WORD_0
	v_mul_lo_u16 v42, 0x89, v66
	ds_write_b128 v73, v[8:11] offset:320
	v_mul_u32_u24_e32 v8, 0x1e0, v68
	v_lshlrev_b32_sdwa v9, v63, v71 dst_sel:DWORD dst_unused:UNUSED_PAD src0_sel:DWORD src1_sel:WORD_0
	v_add3_u32 v40, 0, v40, v41
	v_lshrrev_b16 v80, 12, v42
	v_mov_b32_e32 v91, 0x5a0
	ds_write_b128 v40, v[0:3]
	v_mul_u32_u24_e32 v0, 0x1e0, v69
	v_lshlrev_b32_sdwa v1, v63, v70 dst_sel:DWORD dst_unused:UNUSED_PAD src0_sel:DWORD src1_sel:WORD_0
	v_add3_u32 v2, 0, v8, v9
	v_mul_lo_u16 v3, v80, 30
	ds_write_b128 v40, v[4:7] offset:160
	ds_write_b128 v40, v[12:15] offset:320
	v_add3_u32 v0, 0, v0, v1
	ds_write_b128 v2, v[16:19]
	ds_write_b128 v2, v[20:23] offset:160
	ds_write_b128 v2, v[24:27] offset:320
	ds_write_b128 v0, v[28:31]
	v_sub_nc_u16 v82, v88, v3
	ds_write_b128 v0, v[32:35] offset:160
	ds_write_b128 v0, v[36:39] offset:320
	v_mul_lo_u16 v0, 0x89, v65
	v_mul_lo_u16 v1, 0x89, v67
	v_lshlrev_b32_sdwa v2, v64, v82 dst_sel:DWORD dst_unused:UNUSED_PAD src0_sel:DWORD src1_sel:BYTE_0
	v_mov_b32_e32 v24, 0x8889
	s_waitcnt lgkmcnt(0)
	v_lshrrev_b16 v68, 12, v0
	v_lshrrev_b16 v81, 12, v1
	s_barrier
	buffer_gl0_inv
	global_load_dwordx4 v[40:43], v2, s[8:9] offset:320
	v_mul_lo_u16 v0, v68, 30
	v_mul_lo_u16 v1, v81, 30
	global_load_dwordx4 v[44:47], v2, s[8:9] offset:336
	v_mul_u32_u24_sdwa v4, v97, v24 dst_sel:DWORD dst_unused:UNUSED_PAD src0_sel:WORD_0 src1_sel:DWORD
	v_mul_u32_u24_sdwa v9, v96, v24 dst_sel:DWORD dst_unused:UNUSED_PAD src0_sel:WORD_0 src1_sel:DWORD
	v_sub_nc_u16 v73, v101, v0
	v_mul_u32_u24_sdwa v0, v100, v24 dst_sel:DWORD dst_unused:UNUSED_PAD src0_sel:WORD_0 src1_sel:DWORD
	v_sub_nc_u16 v85, v90, v1
	v_lshrrev_b32_e32 v69, 20, v4
	v_lshrrev_b32_e32 v66, 20, v9
	v_mul_u32_u24_sdwa v26, v95, v24 dst_sel:DWORD dst_unused:UNUSED_PAD src0_sel:WORD_0 src1_sel:DWORD
	v_lshrrev_b32_e32 v72, 20, v0
	v_lshlrev_b32_sdwa v1, v64, v85 dst_sel:DWORD dst_unused:UNUSED_PAD src0_sel:DWORD src1_sel:BYTE_0
	v_mul_lo_u16 v10, v69, 30
	v_lshlrev_b32_sdwa v85, v63, v85 dst_sel:DWORD dst_unused:UNUSED_PAD src0_sel:DWORD src1_sel:BYTE_0
	v_lshrrev_b32_e32 v83, 20, v26
	v_mul_lo_u16 v0, v72, 30
	s_clause 0x1
	global_load_dwordx4 v[48:51], v1, s[8:9] offset:320
	global_load_dwordx4 v[105:108], v1, s[8:9] offset:336
	v_lshlrev_b32_sdwa v1, v64, v73 dst_sel:DWORD dst_unused:UNUSED_PAD src0_sel:DWORD src1_sel:BYTE_0
	v_sub_nc_u16 v75, v97, v10
	v_sub_nc_u16 v79, v100, v0
	global_load_dwordx4 v[109:112], v1, s[8:9] offset:320
	v_mul_u32_u24_sdwa v2, v99, v24 dst_sel:DWORD dst_unused:UNUSED_PAD src0_sel:WORD_0 src1_sel:DWORD
	v_lshlrev_b32_sdwa v0, v64, v79 dst_sel:DWORD dst_unused:UNUSED_PAD src0_sel:DWORD src1_sel:WORD_0
	s_clause 0x1
	global_load_dwordx4 v[113:116], v1, s[8:9] offset:336
	global_load_dwordx4 v[117:120], v0, s[8:9] offset:320
	v_lshrrev_b32_e32 v71, 20, v2
	v_mul_u32_u24_sdwa v1, v98, v24 dst_sel:DWORD dst_unused:UNUSED_PAD src0_sel:WORD_0 src1_sel:DWORD
	v_lshlrev_b32_sdwa v9, v64, v75 dst_sel:DWORD dst_unused:UNUSED_PAD src0_sel:DWORD src1_sel:WORD_0
	v_mul_u32_u24_sdwa v24, v94, v24 dst_sel:DWORD dst_unused:UNUSED_PAD src0_sel:WORD_0 src1_sel:DWORD
	v_mul_lo_u16 v2, v71, 30
	v_lshrrev_b32_e32 v76, 20, v1
	v_lshrrev_b32_e32 v77, 20, v24
	v_mul_lo_u16 v24, v83, 30
	v_sub_nc_u16 v70, v99, v2
	v_sub_nc_u16 v84, v95, v24
	v_lshlrev_b32_sdwa v2, v64, v70 dst_sel:DWORD dst_unused:UNUSED_PAD src0_sel:DWORD src1_sel:WORD_0
	s_clause 0x1
	global_load_dwordx4 v[121:124], v0, s[8:9] offset:336
	global_load_dwordx4 v[125:128], v2, s[8:9] offset:320
	v_mul_lo_u16 v0, v76, 30
	global_load_dwordx4 v[16:19], v9, s[8:9] offset:320
	v_lshlrev_b32_sdwa v24, v64, v84 dst_sel:DWORD dst_unused:UNUSED_PAD src0_sel:DWORD src1_sel:WORD_0
	v_sub_nc_u16 v74, v98, v0
	global_load_dwordx4 v[0:3], v2, s[8:9] offset:336
	v_lshlrev_b32_sdwa v8, v64, v74 dst_sel:DWORD dst_unused:UNUSED_PAD src0_sel:DWORD src1_sel:WORD_0
	s_clause 0x1
	global_load_dwordx4 v[4:7], v8, s[8:9] offset:320
	global_load_dwordx4 v[12:15], v8, s[8:9] offset:336
	v_mul_lo_u16 v8, v66, 30
	v_sub_nc_u16 v67, v96, v8
	global_load_dwordx4 v[8:11], v9, s[8:9] offset:336
	v_lshlrev_b32_sdwa v25, v64, v67 dst_sel:DWORD dst_unused:UNUSED_PAD src0_sel:DWORD src1_sel:WORD_0
	s_clause 0x1
	global_load_dwordx4 v[20:23], v25, s[8:9] offset:320
	global_load_dwordx4 v[129:132], v25, s[8:9] offset:336
	v_mul_lo_u16 v25, v77, 30
	v_sub_nc_u16 v78, v94, v25
	v_lshlrev_b32_sdwa v25, v64, v78 dst_sel:DWORD dst_unused:UNUSED_PAD src0_sel:DWORD src1_sel:WORD_0
	s_clause 0x3
	global_load_dwordx4 v[32:35], v24, s[8:9] offset:320
	global_load_dwordx4 v[28:31], v24, s[8:9] offset:336
	;; [unrolled: 1-line block ×4, first 2 shown]
	ds_read_b128 v[133:136], v104 offset:12960
	ds_read_b128 v[137:140], v104 offset:25920
	;; [unrolled: 1-line block ×3, first 2 shown]
	ds_read_b128 v[145:148], v104
	ds_read_b128 v[149:152], v104 offset:27216
	ds_read_b128 v[153:156], v104 offset:15552
	;; [unrolled: 1-line block ×5, first 2 shown]
	s_waitcnt vmcnt(19) lgkmcnt(8)
	v_mul_f64 v[86:87], v[135:136], v[42:43]
	v_mul_f64 v[42:43], v[133:134], v[42:43]
	s_waitcnt vmcnt(18) lgkmcnt(7)
	v_mul_f64 v[102:103], v[139:140], v[46:47]
	v_mul_f64 v[46:47], v[137:138], v[46:47]
	s_waitcnt vmcnt(17) lgkmcnt(6)
	v_mul_f64 v[169:170], v[143:144], v[50:51]
	s_waitcnt vmcnt(16) lgkmcnt(4)
	v_mul_f64 v[171:172], v[151:152], v[107:108]
	v_mul_f64 v[50:51], v[141:142], v[50:51]
	v_fma_f64 v[86:87], v[133:134], v[40:41], v[86:87]
	v_fma_f64 v[173:174], v[135:136], v[40:41], -v[42:43]
	v_mul_f64 v[40:41], v[149:150], v[107:108]
	s_waitcnt vmcnt(15) lgkmcnt(3)
	v_mul_f64 v[42:43], v[155:156], v[111:112]
	v_mul_f64 v[111:112], v[153:154], v[111:112]
	ds_read_b128 v[133:136], v104 offset:29808
	v_fma_f64 v[102:103], v[137:138], v[44:45], v[102:103]
	v_fma_f64 v[175:176], v[139:140], v[44:45], -v[46:47]
	ds_read_b128 v[137:140], v104 offset:18144
	s_waitcnt vmcnt(14) lgkmcnt(3)
	v_mul_f64 v[44:45], v[163:164], v[115:116]
	v_mul_f64 v[46:47], v[161:162], v[115:116]
	s_waitcnt vmcnt(13) lgkmcnt(2)
	v_mul_f64 v[115:116], v[167:168], v[119:120]
	v_mul_f64 v[119:120], v[165:166], v[119:120]
	v_fma_f64 v[169:170], v[141:142], v[48:49], v[169:170]
	v_fma_f64 v[149:150], v[149:150], v[105:106], v[171:172]
	v_fma_f64 v[177:178], v[143:144], v[48:49], -v[50:51]
	ds_read_b128 v[141:144], v104 offset:31104
	v_fma_f64 v[151:152], v[151:152], v[105:106], -v[40:41]
	v_fma_f64 v[153:154], v[153:154], v[109:110], v[42:43]
	ds_read_b128 v[105:108], v104 offset:19440
	v_fma_f64 v[155:156], v[155:156], v[109:110], -v[111:112]
	s_waitcnt vmcnt(12) lgkmcnt(3)
	v_mul_f64 v[42:43], v[135:136], v[123:124]
	v_mul_f64 v[123:124], v[133:134], v[123:124]
	s_waitcnt vmcnt(11) lgkmcnt(2)
	v_mul_f64 v[171:172], v[139:140], v[127:128]
	v_mul_f64 v[127:128], v[137:138], v[127:128]
	ds_read_b128 v[109:112], v104 offset:32400
	v_fma_f64 v[48:49], v[161:162], v[113:114], v[44:45]
	v_fma_f64 v[50:51], v[163:164], v[113:114], -v[46:47]
	v_fma_f64 v[40:41], v[165:166], v[117:118], v[115:116]
	ds_read_b128 v[113:116], v104 offset:20736
	v_fma_f64 v[44:45], v[167:168], v[117:118], -v[119:120]
	ds_read_b128 v[117:120], v104 offset:33696
	s_waitcnt vmcnt(8) lgkmcnt(3)
	v_mul_f64 v[165:166], v[107:108], v[6:7]
	v_mul_f64 v[167:168], v[105:106], v[6:7]
	v_fma_f64 v[6:7], v[133:134], v[121:122], v[42:43]
	v_fma_f64 v[46:47], v[135:136], v[121:122], -v[123:124]
	ds_read_b128 v[121:124], v104 offset:22032
	v_mul_f64 v[161:162], v[143:144], v[2:3]
	v_mul_f64 v[163:164], v[141:142], v[2:3]
	v_fma_f64 v[2:3], v[137:138], v[125:126], v[171:172]
	v_fma_f64 v[42:43], v[139:140], v[125:126], -v[127:128]
	s_waitcnt vmcnt(7) lgkmcnt(3)
	v_mul_f64 v[137:138], v[111:112], v[14:15]
	v_mul_f64 v[14:15], v[109:110], v[14:15]
	s_waitcnt lgkmcnt(2)
	v_mul_f64 v[139:140], v[115:116], v[18:19]
	v_mul_f64 v[18:19], v[113:114], v[18:19]
	ds_read_b128 v[133:136], v104 offset:34992
	ds_read_b128 v[125:128], v59
	v_fma_f64 v[141:142], v[141:142], v[0:1], v[161:162]
	v_fma_f64 v[143:144], v[143:144], v[0:1], -v[163:164]
	v_fma_f64 v[0:1], v[105:106], v[4:5], v[165:166]
	v_fma_f64 v[4:5], v[107:108], v[4:5], -v[167:168]
	s_waitcnt vmcnt(5) lgkmcnt(2)
	v_mul_f64 v[165:166], v[123:124], v[22:23]
	v_mul_f64 v[22:23], v[121:122], v[22:23]
	v_fma_f64 v[167:168], v[111:112], v[12:13], -v[14:15]
	v_fma_f64 v[139:140], v[113:114], v[16:17], v[139:140]
	v_fma_f64 v[171:172], v[115:116], v[16:17], -v[18:19]
	ds_read_b128 v[14:17], v104 offset:37584
	s_waitcnt vmcnt(4) lgkmcnt(2)
	v_mul_f64 v[18:19], v[135:136], v[131:132]
	v_mul_f64 v[111:112], v[133:134], v[131:132]
	v_fma_f64 v[137:138], v[109:110], v[12:13], v[137:138]
	v_add_f64 v[109:110], v[86:87], v[102:103]
	ds_read_b128 v[105:108], v104 offset:23328
	s_waitcnt vmcnt(1)
	v_mul_f64 v[115:116], v[159:160], v[38:39]
	v_mul_f64 v[38:39], v[157:158], v[38:39]
	v_add_f64 v[131:132], v[177:178], -v[151:152]
	v_fma_f64 v[165:166], v[121:122], v[20:21], v[165:166]
	v_fma_f64 v[179:180], v[123:124], v[20:21], -v[22:23]
	v_add_f64 v[121:122], v[173:174], -v[175:176]
	v_add_f64 v[123:124], v[177:178], v[151:152]
	v_fma_f64 v[133:134], v[133:134], v[129:130], v[18:19]
	ds_read_b128 v[18:21], v62
	v_mul_f64 v[161:162], v[119:120], v[10:11]
	v_mul_f64 v[163:164], v[117:118], v[10:11]
	ds_read_b128 v[10:13], v104 offset:36288
	s_waitcnt lgkmcnt(2)
	v_mul_f64 v[22:23], v[107:108], v[34:35]
	v_fma_f64 v[109:110], v[109:110], -0.5, v[145:146]
	v_fma_f64 v[135:136], v[135:136], v[129:130], -v[111:112]
	v_add_f64 v[111:112], v[169:170], v[149:150]
	v_mul_f64 v[34:35], v[105:106], v[34:35]
	v_fma_f64 v[38:39], v[159:160], v[36:37], -v[38:39]
	v_fma_f64 v[157:158], v[157:158], v[36:37], v[115:116]
	s_waitcnt lgkmcnt(1)
	v_fma_f64 v[159:160], v[123:124], -0.5, v[20:21]
	v_fma_f64 v[161:162], v[117:118], v[8:9], v[161:162]
	v_fma_f64 v[163:164], v[119:120], v[8:9], -v[163:164]
	v_add_f64 v[8:9], v[173:174], v[175:176]
	s_waitcnt lgkmcnt(0)
	v_mul_f64 v[113:114], v[12:13], v[30:31]
	v_mul_f64 v[30:31], v[10:11], v[30:31]
	v_add_f64 v[117:118], v[147:148], v[173:174]
	v_add_f64 v[119:120], v[145:146], v[86:87]
	v_add_f64 v[86:87], v[86:87], -v[102:103]
	v_fma_f64 v[145:146], v[105:106], v[32:33], v[22:23]
	s_waitcnt vmcnt(0)
	v_mul_f64 v[22:23], v[16:17], v[26:27]
	v_fma_f64 v[129:130], v[8:9], -0.5, v[147:148]
	v_fma_f64 v[173:174], v[10:11], v[28:29], v[113:114]
	v_fma_f64 v[181:182], v[12:13], v[28:29], -v[30:31]
	v_mul_f64 v[12:13], v[14:15], v[26:27]
	v_add_f64 v[10:11], v[117:118], v[175:176]
	v_add_f64 v[8:9], v[119:120], v[102:103]
	v_fma_f64 v[26:27], v[121:122], s[4:5], v[109:110]
	v_fma_f64 v[30:31], v[121:122], s[6:7], v[109:110]
	v_fma_f64 v[102:103], v[111:112], -0.5, v[18:19]
	v_add_f64 v[117:118], v[20:21], v[177:178]
	v_add_f64 v[121:122], v[18:19], v[169:170]
	v_add_f64 v[169:170], v[169:170], -v[149:150]
	v_fma_f64 v[147:148], v[107:108], v[32:33], -v[34:35]
	ds_read_b128 v[34:37], v61
	v_add_f64 v[175:176], v[153:154], v[48:49]
	v_add_f64 v[177:178], v[155:156], v[50:51]
	v_mul_u32_u24_sdwa v18, v80, v91 dst_sel:DWORD dst_unused:UNUSED_PAD src0_sel:WORD_0 src1_sel:DWORD
	v_lshlrev_b32_sdwa v19, v63, v82 dst_sel:DWORD dst_unused:UNUSED_PAD src0_sel:DWORD src1_sel:BYTE_0
	v_fma_f64 v[28:29], v[86:87], s[6:7], v[129:130]
	v_fma_f64 v[32:33], v[86:87], s[4:5], v[129:130]
	;; [unrolled: 1-line block ×3, first 2 shown]
	v_fma_f64 v[183:184], v[16:17], v[24:25], -v[12:13]
	v_add3_u32 v82, 0, v18, v19
	ds_read_b128 v[12:15], v60
	ds_read_b128 v[16:19], v58
	ds_read_b128 v[20:23], v57
	ds_read_b128 v[105:108], v56
	ds_read_b128 v[109:112], v55
	ds_read_b128 v[113:116], v54
	s_waitcnt lgkmcnt(0)
	s_barrier
	v_fma_f64 v[129:130], v[131:132], s[6:7], v[102:103]
	v_add_f64 v[119:120], v[117:118], v[151:152]
	v_add_f64 v[117:118], v[121:122], v[149:150]
	v_fma_f64 v[121:122], v[131:132], s[4:5], v[102:103]
	v_add_f64 v[24:25], v[36:37], v[155:156]
	v_add_f64 v[102:103], v[34:35], v[153:154]
	v_fma_f64 v[123:124], v[169:170], s[6:7], v[159:160]
	v_fma_f64 v[131:132], v[169:170], s[4:5], v[159:160]
	v_mul_u32_u24_sdwa v159, v81, v91 dst_sel:DWORD dst_unused:UNUSED_PAD src0_sel:WORD_0 src1_sel:DWORD
	v_fma_f64 v[34:35], v[175:176], -0.5, v[34:35]
	v_fma_f64 v[36:37], v[177:178], -0.5, v[36:37]
	v_add_f64 v[80:81], v[155:156], -v[50:51]
	v_add_f64 v[149:150], v[153:154], -v[48:49]
	buffer_gl0_inv
	ds_write_b128 v82, v[8:11]
	ds_write_b128 v82, v[26:29] offset:480
	v_add_f64 v[151:152], v[40:41], v[6:7]
	v_add3_u32 v8, 0, v159, v85
	v_add_f64 v[153:154], v[44:45], v[46:47]
	v_add_f64 v[155:156], v[127:128], v[44:45]
	;; [unrolled: 1-line block ×5, first 2 shown]
	ds_write_b128 v82, v[30:33] offset:960
	ds_write_b128 v8, v[117:120]
	ds_write_b128 v8, v[121:124] offset:480
	ds_write_b128 v8, v[129:132] offset:960
	v_add_f64 v[10:11], v[24:25], v[50:51]
	v_add_f64 v[8:9], v[102:103], v[48:49]
	;; [unrolled: 1-line block ×4, first 2 shown]
	v_mul_u32_u24_sdwa v32, v68, v91 dst_sel:DWORD dst_unused:UNUSED_PAD src0_sel:WORD_0 src1_sel:DWORD
	v_lshlrev_b32_sdwa v33, v63, v73 dst_sel:DWORD dst_unused:UNUSED_PAD src0_sel:DWORD src1_sel:BYTE_0
	v_fma_f64 v[24:25], v[80:81], s[4:5], v[34:35]
	v_fma_f64 v[26:27], v[149:150], s[6:7], v[36:37]
	;; [unrolled: 1-line block ×4, first 2 shown]
	v_add3_u32 v68, 0, v32, v33
	v_fma_f64 v[36:37], v[151:152], -0.5, v[125:126]
	v_add_f64 v[44:45], v[44:45], -v[46:47]
	v_fma_f64 v[80:81], v[153:154], -0.5, v[127:128]
	v_add_f64 v[34:35], v[155:156], v[46:47]
	v_add_f64 v[32:33], v[159:160], v[6:7]
	v_add_f64 v[6:7], v[40:41], -v[6:7]
	v_fma_f64 v[40:41], v[169:170], -0.5, v[12:13]
	v_fma_f64 v[46:47], v[175:176], -0.5, v[14:15]
	v_add_f64 v[14:15], v[14:15], v[42:43]
	v_add_f64 v[12:13], v[12:13], v[2:3]
	v_add_f64 v[42:43], v[42:43], -v[143:144]
	v_mul_u32_u24_e32 v82, 0x5a0, v72
	v_add_f64 v[72:73], v[2:3], -v[141:142]
	v_add_f64 v[102:103], v[18:19], v[4:5]
	v_add_f64 v[117:118], v[16:17], v[0:1]
	v_fma_f64 v[48:49], v[48:49], -0.5, v[16:17]
	v_fma_f64 v[50:51], v[50:51], -0.5, v[18:19]
	v_add_f64 v[119:120], v[4:5], -v[167:168]
	v_add_f64 v[121:122], v[0:1], -v[137:138]
	v_lshlrev_b32_sdwa v2, v63, v79 dst_sel:DWORD dst_unused:UNUSED_PAD src0_sel:DWORD src1_sel:WORD_0
	ds_write_b128 v68, v[8:11]
	ds_write_b128 v68, v[24:27] offset:480
	ds_write_b128 v68, v[28:31] offset:960
	v_fma_f64 v[0:1], v[44:45], s[4:5], v[36:37]
	v_add3_u32 v68, 0, v82, v2
	v_fma_f64 v[4:5], v[44:45], s[6:7], v[36:37]
	v_add_f64 v[36:37], v[139:140], v[161:162]
	v_fma_f64 v[2:3], v[6:7], s[6:7], v[80:81]
	v_fma_f64 v[6:7], v[6:7], s[4:5], v[80:81]
	v_add_f64 v[44:45], v[20:21], v[139:140]
	v_add_f64 v[10:11], v[14:15], v[143:144]
	;; [unrolled: 1-line block ×3, first 2 shown]
	v_fma_f64 v[12:13], v[42:43], s[4:5], v[40:41]
	v_fma_f64 v[16:17], v[42:43], s[6:7], v[40:41]
	;; [unrolled: 1-line block ×4, first 2 shown]
	v_add_f64 v[26:27], v[102:103], v[167:168]
	v_add_f64 v[24:25], v[117:118], v[137:138]
	v_mul_u32_u24_e32 v46, 0x5a0, v71
	v_add_f64 v[40:41], v[171:172], v[163:164]
	v_lshlrev_b32_sdwa v47, v63, v70 dst_sel:DWORD dst_unused:UNUSED_PAD src0_sel:DWORD src1_sel:WORD_0
	v_fma_f64 v[28:29], v[119:120], s[4:5], v[48:49]
	v_fma_f64 v[30:31], v[121:122], s[6:7], v[50:51]
	v_add_f64 v[42:43], v[22:23], v[171:172]
	ds_write_b128 v68, v[32:35]
	v_fma_f64 v[32:33], v[119:120], s[6:7], v[48:49]
	v_fma_f64 v[34:35], v[121:122], s[4:5], v[50:51]
	v_mul_u32_u24_e32 v48, 0x5a0, v76
	v_lshlrev_b32_sdwa v49, v63, v74 dst_sel:DWORD dst_unused:UNUSED_PAD src0_sel:DWORD src1_sel:WORD_0
	v_add3_u32 v50, 0, v46, v47
	v_add_f64 v[46:47], v[165:166], v[133:134]
	ds_write_b128 v68, v[0:3] offset:480
	ds_write_b128 v68, v[4:7] offset:960
	v_add_f64 v[6:7], v[179:180], v[135:136]
	v_add3_u32 v0, 0, v48, v49
	ds_write_b128 v50, v[8:11]
	v_add_f64 v[8:9], v[145:146], v[173:174]
	v_add_f64 v[10:11], v[147:148], v[181:182]
	ds_write_b128 v50, v[12:15] offset:480
	ds_write_b128 v50, v[16:19] offset:960
	ds_write_b128 v0, v[24:27]
	v_add_f64 v[14:15], v[157:158], v[86:87]
	v_add_f64 v[16:17], v[38:39], v[183:184]
	v_fma_f64 v[20:21], v[36:37], -0.5, v[20:21]
	v_add_f64 v[36:37], v[171:172], -v[163:164]
	v_fma_f64 v[12:13], v[40:41], -0.5, v[22:23]
	v_add_f64 v[18:19], v[139:140], -v[161:162]
	ds_write_b128 v0, v[28:31] offset:480
	ds_write_b128 v0, v[32:35] offset:960
	v_add_f64 v[2:3], v[42:43], v[163:164]
	v_add_f64 v[0:1], v[44:45], v[161:162]
	;; [unrolled: 1-line block ×4, first 2 shown]
	v_mul_u32_u24_e32 v50, 0x5a0, v69
	v_lshlrev_b32_sdwa v51, v63, v75 dst_sel:DWORD dst_unused:UNUSED_PAD src0_sel:DWORD src1_sel:WORD_0
	v_fma_f64 v[22:23], v[46:47], -0.5, v[105:106]
	v_add_f64 v[28:29], v[179:180], -v[135:136]
	v_fma_f64 v[30:31], v[6:7], -0.5, v[107:108]
	v_add_f64 v[32:33], v[165:166], -v[133:134]
	v_fma_f64 v[34:35], v[8:9], -0.5, v[109:110]
	v_add_f64 v[40:41], v[111:112], v[147:148]
	v_add_f64 v[42:43], v[109:110], v[145:146]
	v_add_f64 v[44:45], v[147:148], -v[181:182]
	v_fma_f64 v[46:47], v[10:11], -0.5, v[111:112]
	v_add_f64 v[48:49], v[145:146], -v[173:174]
	v_add3_u32 v76, 0, v50, v51
	v_add_f64 v[50:51], v[115:116], v[38:39]
	v_add_f64 v[72:73], v[113:114], v[157:158]
	v_fma_f64 v[68:69], v[14:15], -0.5, v[113:114]
	v_fma_f64 v[70:71], v[16:17], -0.5, v[115:116]
	v_add_f64 v[74:75], v[38:39], -v[183:184]
	v_add_f64 v[79:80], v[157:158], -v[86:87]
	v_fma_f64 v[4:5], v[36:37], s[4:5], v[20:21]
	v_fma_f64 v[6:7], v[18:19], s[6:7], v[12:13]
	v_fma_f64 v[8:9], v[36:37], s[6:7], v[20:21]
	v_fma_f64 v[10:11], v[18:19], s[4:5], v[12:13]
	ds_write_b128 v76, v[0:3]
	v_add_f64 v[2:3], v[24:25], v[135:136]
	v_add_f64 v[0:1], v[26:27], v[133:134]
	v_fma_f64 v[12:13], v[28:29], s[4:5], v[22:23]
	v_fma_f64 v[16:17], v[28:29], s[6:7], v[22:23]
	v_fma_f64 v[14:15], v[32:33], s[6:7], v[30:31]
	v_add_f64 v[22:23], v[40:41], v[181:182]
	v_add_f64 v[20:21], v[42:43], v[173:174]
	v_fma_f64 v[24:25], v[44:45], s[4:5], v[34:35]
	v_fma_f64 v[18:19], v[32:33], s[4:5], v[30:31]
	;; [unrolled: 1-line block ×5, first 2 shown]
	v_add_f64 v[34:35], v[50:51], v[183:184]
	v_add_f64 v[32:33], v[72:73], v[86:87]
	v_mul_u32_u24_e32 v36, 0x5a0, v66
	v_fma_f64 v[38:39], v[74:75], s[4:5], v[68:69]
	v_fma_f64 v[40:41], v[79:80], s[6:7], v[70:71]
	v_lshlrev_b32_sdwa v37, v63, v67 dst_sel:DWORD dst_unused:UNUSED_PAD src0_sel:DWORD src1_sel:WORD_0
	v_fma_f64 v[42:43], v[74:75], s[6:7], v[68:69]
	v_fma_f64 v[44:45], v[79:80], s[4:5], v[70:71]
	v_add3_u32 v46, 0, v36, v37
	v_mul_u32_u24_e32 v36, 0x5a0, v83
	v_lshlrev_b32_sdwa v37, v63, v84 dst_sel:DWORD dst_unused:UNUSED_PAD src0_sel:DWORD src1_sel:WORD_0
	ds_write_b128 v76, v[4:7] offset:480
	ds_write_b128 v76, v[8:11] offset:960
	ds_write_b128 v46, v[0:3]
	v_add_nc_u32_e32 v3, -9, v88
	v_mul_u32_u24_e32 v0, 0x5a0, v77
	v_lshlrev_b32_sdwa v1, v63, v78 dst_sel:DWORD dst_unused:UNUSED_PAD src0_sel:DWORD src1_sel:WORD_0
	v_add3_u32 v2, 0, v36, v37
	v_mov_b32_e32 v37, 0
	v_cndmask_b32_e64 v74, v3, v90, s0
	v_lshlrev_b32_e32 v36, 1, v88
	v_add3_u32 v4, 0, v0, v1
	ds_write_b128 v46, v[12:15] offset:480
	ds_write_b128 v46, v[16:19] offset:960
	ds_write_b128 v2, v[20:23]
	ds_write_b128 v2, v[24:27] offset:480
	ds_write_b128 v2, v[28:31] offset:960
	ds_write_b128 v4, v[32:35]
	ds_write_b128 v4, v[38:41] offset:480
	v_lshlrev_b32_e32 v2, 1, v74
	v_mov_b32_e32 v3, v37
	v_lshlrev_b64 v[0:1], 4, v[36:37]
	v_mov_b32_e32 v40, 0x2d83
	ds_write_b128 v4, v[42:45] offset:960
	v_mul_lo_u16 v8, 0xb7, v65
	v_lshlrev_b64 v[4:5], 4, v[2:3]
	s_waitcnt lgkmcnt(0)
	v_add_co_u32 v38, s0, s8, v0
	v_add_co_ci_u32_e64 v39, s0, s9, v1, s0
	v_add_co_u32 v12, s0, s8, v4
	v_add_co_ci_u32_e64 v13, s0, s9, v5, s0
	v_mul_u32_u24_sdwa v16, v100, v40 dst_sel:DWORD dst_unused:UNUSED_PAD src0_sel:WORD_0 src1_sel:DWORD
	s_barrier
	buffer_gl0_inv
	s_clause 0x1
	global_load_dwordx4 v[0:3], v[38:39], off offset:1280
	global_load_dwordx4 v[4:7], v[38:39], off offset:1296
	v_lshrrev_b16 v68, 14, v8
	global_load_dwordx4 v[8:11], v[12:13], off offset:1280
	v_lshrrev_b32_e32 v70, 20, v16
	v_mul_u32_u24_sdwa v22, v99, v40 dst_sel:DWORD dst_unused:UNUSED_PAD src0_sel:WORD_0 src1_sel:DWORD
	v_mul_u32_u24_sdwa v30, v98, v40 dst_sel:DWORD dst_unused:UNUSED_PAD src0_sel:WORD_0 src1_sel:DWORD
	v_mul_lo_u16 v14, 0x5a, v68
	v_cmp_lt_u32_e64 s0, 8, v88
	v_mul_lo_u16 v21, 0x5a, v70
	v_lshrrev_b32_e32 v76, 20, v22
	v_lshrrev_b32_e32 v69, 20, v30
	v_sub_nc_u16 v75, v101, v14
	global_load_dwordx4 v[12:15], v[12:13], off offset:1296
	v_sub_nc_u16 v78, v100, v21
	v_mul_lo_u16 v29, 0x5a, v76
	v_mul_lo_u16 v42, 0x5a, v69
	v_lshlrev_b32_sdwa v20, v64, v75 dst_sel:DWORD dst_unused:UNUSED_PAD src0_sel:DWORD src1_sel:BYTE_0
	v_lshlrev_b32_e32 v74, 4, v74
	v_lshlrev_b32_sdwa v28, v64, v78 dst_sel:DWORD dst_unused:UNUSED_PAD src0_sel:DWORD src1_sel:WORD_0
	v_sub_nc_u16 v80, v99, v29
	v_sub_nc_u16 v71, v98, v42
	global_load_dwordx4 v[16:19], v20, s[8:9] offset:1280
	v_cndmask_b32_e64 v87, 0, 0x10e0, s0
	s_clause 0x2
	global_load_dwordx4 v[24:27], v28, s[8:9] offset:1280
	global_load_dwordx4 v[20:23], v20, s[8:9] offset:1296
	;; [unrolled: 1-line block ×3, first 2 shown]
	v_lshlrev_b32_sdwa v41, v64, v80 dst_sel:DWORD dst_unused:UNUSED_PAD src0_sel:DWORD src1_sel:WORD_0
	s_clause 0x1
	global_load_dwordx4 v[32:35], v41, s[8:9] offset:1280
	global_load_dwordx4 v[81:84], v41, s[8:9] offset:1296
	v_mul_u32_u24_sdwa v41, v97, v40 dst_sel:DWORD dst_unused:UNUSED_PAD src0_sel:WORD_0 src1_sel:DWORD
	v_lshlrev_b32_sdwa v42, v64, v71 dst_sel:DWORD dst_unused:UNUSED_PAD src0_sel:DWORD src1_sel:WORD_0
	v_add3_u32 v74, 0, v87, v74
	v_lshlrev_b32_sdwa v87, v63, v75 dst_sel:DWORD dst_unused:UNUSED_PAD src0_sel:DWORD src1_sel:BYTE_0
	v_mul_u32_u24_e32 v70, 0x10e0, v70
	v_lshrrev_b32_e32 v65, 20, v41
	s_clause 0x1
	global_load_dwordx4 v[105:108], v42, s[8:9] offset:1280
	global_load_dwordx4 v[109:112], v42, s[8:9] offset:1296
	v_lshlrev_b32_sdwa v78, v63, v78 dst_sel:DWORD dst_unused:UNUSED_PAD src0_sel:DWORD src1_sel:WORD_0
	v_mul_lo_u16 v41, 0x5a, v65
	v_mul_u32_u24_e32 v65, 0x10e0, v65
	v_add3_u32 v70, 0, v70, v78
	v_sub_nc_u16 v66, v97, v41
	v_mul_u32_u24_sdwa v41, v96, v40 dst_sel:DWORD dst_unused:UNUSED_PAD src0_sel:WORD_0 src1_sel:DWORD
	v_lshlrev_b32_sdwa v43, v64, v66 dst_sel:DWORD dst_unused:UNUSED_PAD src0_sel:DWORD src1_sel:WORD_0
	v_lshrrev_b32_e32 v67, 20, v41
	v_mul_u32_u24_sdwa v41, v95, v40 dst_sel:DWORD dst_unused:UNUSED_PAD src0_sel:WORD_0 src1_sel:DWORD
	v_mul_u32_u24_sdwa v40, v94, v40 dst_sel:DWORD dst_unused:UNUSED_PAD src0_sel:WORD_0 src1_sel:DWORD
	v_lshlrev_b32_sdwa v66, v63, v66 dst_sel:DWORD dst_unused:UNUSED_PAD src0_sel:DWORD src1_sel:WORD_0
	global_load_dwordx4 v[113:116], v43, s[8:9] offset:1280
	v_mul_lo_u16 v42, 0x5a, v67
	v_lshrrev_b32_e32 v72, 20, v41
	global_load_dwordx4 v[117:120], v43, s[8:9] offset:1296
	v_lshrrev_b32_e32 v40, 20, v40
	v_sub_nc_u16 v77, v96, v42
	v_mul_lo_u16 v41, 0x5a, v72
	v_mul_lo_u16 v40, 0x5a, v40
	v_lshlrev_b32_sdwa v42, v64, v77 dst_sel:DWORD dst_unused:UNUSED_PAD src0_sel:DWORD src1_sel:WORD_0
	v_sub_nc_u16 v73, v95, v41
	v_sub_nc_u16 v40, v94, v40
	global_load_dwordx4 v[121:124], v42, s[8:9] offset:1280
	v_lshlrev_b32_sdwa v41, v64, v73 dst_sel:DWORD dst_unused:UNUSED_PAD src0_sel:DWORD src1_sel:WORD_0
	s_clause 0x1
	global_load_dwordx4 v[125:128], v42, s[8:9] offset:1296
	global_load_dwordx4 v[129:132], v41, s[8:9] offset:1280
	v_and_b32_e32 v79, 0xffff, v40
	v_lshlrev_b32_e32 v40, 5, v79
	s_clause 0x2
	global_load_dwordx4 v[133:136], v41, s[8:9] offset:1296
	global_load_dwordx4 v[137:140], v40, s[8:9] offset:1280
	;; [unrolled: 1-line block ×3, first 2 shown]
	ds_read_b128 v[40:43], v104 offset:12960
	ds_read_b128 v[44:47], v104 offset:25920
	;; [unrolled: 1-line block ×3, first 2 shown]
	ds_read_b128 v[145:148], v104
	ds_read_b128 v[149:152], v104 offset:27216
	ds_read_b128 v[153:156], v104 offset:24624
	;; [unrolled: 1-line block ×5, first 2 shown]
	s_waitcnt vmcnt(19) lgkmcnt(8)
	v_mul_f64 v[85:86], v[42:43], v[2:3]
	v_mul_f64 v[2:3], v[40:41], v[2:3]
	s_waitcnt vmcnt(18) lgkmcnt(7)
	v_mul_f64 v[102:103], v[46:47], v[6:7]
	v_mul_f64 v[6:7], v[44:45], v[6:7]
	s_waitcnt vmcnt(17) lgkmcnt(6)
	v_mul_f64 v[169:170], v[50:51], v[10:11]
	v_mul_f64 v[10:11], v[48:49], v[10:11]
	s_waitcnt vmcnt(16) lgkmcnt(4)
	v_mul_f64 v[171:172], v[151:152], v[14:15]
	v_mul_f64 v[14:15], v[149:150], v[14:15]
	v_fma_f64 v[173:174], v[40:41], v[0:1], v[85:86]
	s_waitcnt vmcnt(15) lgkmcnt(2)
	v_mul_f64 v[40:41], v[159:160], v[18:19]
	v_fma_f64 v[175:176], v[42:43], v[0:1], -v[2:3]
	ds_read_b128 v[0:3], v104 offset:29808
	v_fma_f64 v[102:103], v[44:45], v[4:5], v[102:103]
	v_mul_f64 v[18:19], v[157:158], v[18:19]
	v_fma_f64 v[177:178], v[46:47], v[4:5], -v[6:7]
	v_fma_f64 v[169:170], v[48:49], v[8:9], v[169:170]
	v_fma_f64 v[179:180], v[50:51], v[8:9], -v[10:11]
	ds_read_b128 v[4:7], v104 offset:18144
	s_waitcnt vmcnt(13) lgkmcnt(2)
	v_mul_f64 v[42:43], v[163:164], v[22:23]
	ds_read_b128 v[8:11], v104 offset:31104
	v_mul_f64 v[22:23], v[161:162], v[22:23]
	v_mul_f64 v[48:49], v[167:168], v[26:27]
	v_fma_f64 v[171:172], v[149:150], v[12:13], v[171:172]
	v_fma_f64 v[181:182], v[151:152], v[12:13], -v[14:15]
	ds_read_b128 v[12:15], v104 offset:19440
	v_mul_f64 v[26:27], v[165:166], v[26:27]
	v_fma_f64 v[183:184], v[157:158], v[16:17], v[40:41]
	s_waitcnt vmcnt(12) lgkmcnt(3)
	v_mul_f64 v[40:41], v[2:3], v[30:31]
	v_mul_f64 v[30:31], v[0:1], v[30:31]
	v_fma_f64 v[185:186], v[159:160], v[16:17], -v[18:19]
	s_waitcnt vmcnt(11) lgkmcnt(2)
	v_mul_f64 v[149:150], v[4:5], v[34:35]
	v_mul_f64 v[85:86], v[6:7], v[34:35]
	s_waitcnt vmcnt(10) lgkmcnt(1)
	v_mul_f64 v[157:158], v[8:9], v[83:84]
	v_mul_f64 v[151:152], v[10:11], v[83:84]
	v_fma_f64 v[44:45], v[161:162], v[20:21], v[42:43]
	v_fma_f64 v[46:47], v[163:164], v[20:21], -v[22:23]
	ds_read_b128 v[16:19], v104 offset:32400
	ds_read_b128 v[20:23], v104 offset:20736
	v_fma_f64 v[50:51], v[165:166], v[24:25], v[48:49]
	s_waitcnt vmcnt(9) lgkmcnt(2)
	v_mul_f64 v[163:164], v[14:15], v[107:108]
	v_mul_f64 v[107:108], v[12:13], v[107:108]
	v_fma_f64 v[161:162], v[167:168], v[24:25], -v[26:27]
	ds_read_b128 v[24:27], v104 offset:33696
	v_fma_f64 v[34:35], v[0:1], v[28:29], v[40:41]
	v_fma_f64 v[48:49], v[2:3], v[28:29], -v[30:31]
	v_fma_f64 v[42:43], v[6:7], v[32:33], -v[149:150]
	v_fma_f64 v[40:41], v[4:5], v[32:33], v[85:86]
	v_fma_f64 v[165:166], v[10:11], v[81:82], -v[157:158]
	s_waitcnt vmcnt(8) lgkmcnt(2)
	v_mul_f64 v[6:7], v[16:17], v[111:112]
	s_waitcnt vmcnt(7) lgkmcnt(1)
	v_mul_f64 v[10:11], v[20:21], v[115:116]
	v_fma_f64 v[30:31], v[8:9], v[81:82], v[151:152]
	ds_read_b128 v[0:3], v104 offset:22032
	ds_read_b128 v[83:86], v59
	ds_read_b128 v[149:152], v104 offset:34992
	v_mul_f64 v[4:5], v[18:19], v[111:112]
	v_mul_f64 v[8:9], v[22:23], v[115:116]
	ds_read_b128 v[157:160], v104 offset:23328
	s_waitcnt vmcnt(6) lgkmcnt(4)
	v_mul_f64 v[28:29], v[26:27], v[119:120]
	v_mul_f64 v[32:33], v[24:25], v[119:120]
	v_fma_f64 v[163:164], v[12:13], v[105:106], v[163:164]
	v_fma_f64 v[167:168], v[14:15], v[105:106], -v[107:108]
	ds_read_b128 v[105:108], v104 offset:37584
	s_waitcnt vmcnt(1)
	v_mul_f64 v[119:120], v[155:156], v[139:140]
	s_waitcnt lgkmcnt(4)
	v_mul_f64 v[81:82], v[2:3], v[123:124]
	v_fma_f64 v[189:190], v[18:19], v[109:110], -v[6:7]
	v_fma_f64 v[14:15], v[22:23], v[113:114], -v[10:11]
	ds_read_b128 v[10:13], v104 offset:36288
	s_waitcnt lgkmcnt(3)
	v_mul_f64 v[6:7], v[151:152], v[127:128]
	v_mul_f64 v[111:112], v[0:1], v[123:124]
	v_fma_f64 v[187:188], v[16:17], v[109:110], v[4:5]
	v_mul_f64 v[18:19], v[149:150], v[127:128]
	v_fma_f64 v[4:5], v[20:21], v[113:114], v[8:9]
	s_waitcnt lgkmcnt(2)
	v_mul_f64 v[20:21], v[159:160], v[131:132]
	v_mul_f64 v[113:114], v[157:158], v[131:132]
	v_fma_f64 v[16:17], v[24:25], v[117:118], v[28:29]
	v_fma_f64 v[24:25], v[26:27], v[117:118], -v[32:33]
	v_add_f64 v[28:29], v[173:174], v[102:103]
	v_add_f64 v[32:33], v[175:176], v[177:178]
	s_waitcnt vmcnt(0) lgkmcnt(1)
	v_mul_f64 v[123:124], v[107:108], v[143:144]
	v_add_f64 v[131:132], v[145:146], v[173:174]
	v_fma_f64 v[8:9], v[0:1], v[121:122], v[81:82]
	v_add_f64 v[81:82], v[169:170], v[171:172]
	s_waitcnt lgkmcnt(0)
	v_mul_f64 v[117:118], v[10:11], v[135:136]
	v_fma_f64 v[0:1], v[149:150], v[125:126], v[6:7]
	v_add_f64 v[6:7], v[179:180], v[181:182]
	v_fma_f64 v[22:23], v[2:3], v[121:122], -v[111:112]
	ds_read_b128 v[109:112], v62
	v_fma_f64 v[2:3], v[151:152], v[125:126], -v[18:19]
	v_fma_f64 v[18:19], v[157:158], v[129:130], v[20:21]
	v_mul_f64 v[20:21], v[12:13], v[135:136]
	v_fma_f64 v[26:27], v[159:160], v[129:130], -v[113:114]
	ds_read_b128 v[113:116], v61
	v_mul_f64 v[125:126], v[105:106], v[143:144]
	v_add_f64 v[129:130], v[147:148], v[175:176]
	v_mul_f64 v[121:122], v[153:154], v[139:140]
	v_fma_f64 v[127:128], v[28:29], -0.5, v[145:146]
	v_add_f64 v[135:136], v[175:176], -v[177:178]
	v_fma_f64 v[139:140], v[32:33], -0.5, v[147:148]
	v_add_f64 v[143:144], v[173:174], -v[102:103]
	v_add_f64 v[149:150], v[179:180], -v[181:182]
	v_add_f64 v[157:158], v[169:170], -v[171:172]
	v_fma_f64 v[28:29], v[153:154], v[137:138], v[119:120]
	v_add_f64 v[159:160], v[161:162], v[48:49]
	s_waitcnt lgkmcnt(1)
	v_fma_f64 v[81:82], v[81:82], -0.5, v[109:110]
	v_add_f64 v[145:146], v[111:112], v[179:180]
	v_add_f64 v[147:148], v[109:110], v[169:170]
	v_fma_f64 v[151:152], v[6:7], -0.5, v[111:112]
	v_fma_f64 v[6:7], v[105:106], v[141:142], v[123:124]
	v_fma_f64 v[10:11], v[10:11], v[133:134], v[20:21]
	v_fma_f64 v[20:21], v[12:13], v[133:134], -v[117:118]
	v_add_f64 v[105:106], v[131:132], v[102:103]
	v_fma_f64 v[12:13], v[107:108], v[141:142], -v[125:126]
	v_add_f64 v[107:108], v[129:130], v[177:178]
	;; [unrolled: 2-line block ×3, first 2 shown]
	v_fma_f64 v[109:110], v[135:136], s[4:5], v[127:128]
	v_fma_f64 v[117:118], v[135:136], s[6:7], v[127:128]
	;; [unrolled: 1-line block ×4, first 2 shown]
	v_add_f64 v[169:170], v[183:184], -v[44:45]
	v_fma_f64 v[125:126], v[149:150], s[4:5], v[81:82]
	v_add_f64 v[123:124], v[145:146], v[181:182]
	v_add_f64 v[121:122], v[147:148], v[171:172]
	v_fma_f64 v[129:130], v[149:150], s[6:7], v[81:82]
	v_add_f64 v[81:82], v[185:186], v[46:47]
	v_fma_f64 v[127:128], v[157:158], s[6:7], v[151:152]
	v_fma_f64 v[131:132], v[157:158], s[4:5], v[151:152]
	ds_read_b128 v[133:136], v60
	ds_read_b128 v[137:140], v58
	;; [unrolled: 1-line block ×6, first 2 shown]
	s_waitcnt lgkmcnt(0)
	s_barrier
	v_add_f64 v[157:158], v[50:51], v[34:35]
	buffer_gl0_inv
	ds_write_b128 v104, v[105:108]
	v_add_f64 v[105:106], v[115:116], v[185:186]
	v_add_f64 v[107:108], v[113:114], v[183:184]
	v_fma_f64 v[102:103], v[102:103], -0.5, v[113:114]
	v_add_f64 v[113:114], v[185:186], -v[46:47]
	ds_write_b128 v104, v[109:112] offset:1440
	ds_write_b128 v104, v[117:120] offset:2880
	v_add_f64 v[109:110], v[85:86], v[161:162]
	v_add_f64 v[111:112], v[40:41], v[30:31]
	ds_write_b128 v74, v[121:124]
	ds_write_b128 v74, v[125:128] offset:1440
	v_fma_f64 v[115:116], v[81:82], -0.5, v[115:116]
	v_add_f64 v[117:118], v[42:43], v[165:166]
	v_add_f64 v[121:122], v[83:84], v[50:51]
	v_fma_f64 v[85:86], v[159:160], -0.5, v[85:86]
	v_add_f64 v[123:124], v[161:162], -v[48:49]
	v_fma_f64 v[119:120], v[157:158], -0.5, v[83:84]
	v_add_f64 v[125:126], v[50:51], -v[34:35]
	v_add_f64 v[127:128], v[163:164], v[187:188]
	v_add_f64 v[46:47], v[105:106], v[46:47]
	;; [unrolled: 1-line block ×3, first 2 shown]
	v_mov_b32_e32 v50, 0x10e0
	ds_write_b128 v74, v[129:132] offset:2880
	v_add_f64 v[129:130], v[167:168], v[189:190]
	v_fma_f64 v[81:82], v[113:114], s[4:5], v[102:103]
	v_fma_f64 v[105:106], v[113:114], s[6:7], v[102:103]
	v_mul_u32_u24_sdwa v68, v68, v50 dst_sel:DWORD dst_unused:UNUSED_PAD src0_sel:WORD_0 src1_sel:DWORD
	v_add_f64 v[50:51], v[109:110], v[48:49]
	v_fma_f64 v[74:75], v[111:112], -0.5, v[133:134]
	v_add_f64 v[113:114], v[42:43], -v[165:166]
	v_add_f64 v[102:103], v[135:136], v[42:43]
	v_add3_u32 v68, 0, v68, v87
	v_add_f64 v[109:110], v[133:134], v[40:41]
	v_fma_f64 v[83:84], v[169:170], s[6:7], v[115:116]
	v_fma_f64 v[107:108], v[169:170], s[4:5], v[115:116]
	v_fma_f64 v[111:112], v[117:118], -0.5, v[135:136]
	v_add_f64 v[115:116], v[40:41], -v[30:31]
	v_add_f64 v[48:49], v[121:122], v[34:35]
	v_fma_f64 v[40:41], v[123:124], s[4:5], v[119:120]
	v_fma_f64 v[42:43], v[125:126], s[6:7], v[85:86]
	v_fma_f64 v[34:35], v[127:128], -0.5, v[137:138]
	v_add_f64 v[121:122], v[139:140], v[167:168]
	v_add_f64 v[127:128], v[137:138], v[163:164]
	ds_write_b128 v68, v[44:47]
	v_fma_f64 v[44:45], v[123:124], s[6:7], v[119:120]
	v_fma_f64 v[46:47], v[125:126], s[4:5], v[85:86]
	v_fma_f64 v[117:118], v[129:130], -0.5, v[139:140]
	v_add_f64 v[129:130], v[167:168], -v[189:190]
	v_add_f64 v[131:132], v[163:164], -v[187:188]
	v_add_f64 v[85:86], v[143:144], v[14:15]
	v_add_f64 v[119:120], v[32:33], -v[12:13]
	ds_write_b128 v68, v[81:84] offset:1440
	ds_write_b128 v68, v[105:108] offset:2880
	v_mul_u32_u24_e32 v68, 0x10e0, v76
	v_lshlrev_b32_sdwa v76, v63, v80 dst_sel:DWORD dst_unused:UNUSED_PAD src0_sel:DWORD src1_sel:WORD_0
	ds_write_b128 v70, v[48:51]
	v_fma_f64 v[48:49], v[113:114], s[6:7], v[74:75]
	v_fma_f64 v[50:51], v[115:116], s[4:5], v[111:112]
	v_add_f64 v[83:84], v[102:103], v[165:166]
	v_add_f64 v[81:82], v[109:110], v[30:31]
	v_fma_f64 v[105:106], v[113:114], s[4:5], v[74:75]
	v_fma_f64 v[107:108], v[115:116], s[6:7], v[111:112]
	ds_write_b128 v70, v[40:43] offset:1440
	v_add_f64 v[42:43], v[121:122], v[189:190]
	v_add_f64 v[40:41], v[127:128], v[187:188]
	v_add3_u32 v76, 0, v68, v76
	ds_write_b128 v70, v[44:47] offset:2880
	v_mul_u32_u24_e32 v44, 0x10e0, v69
	v_lshlrev_b32_sdwa v45, v63, v71 dst_sel:DWORD dst_unused:UNUSED_PAD src0_sel:DWORD src1_sel:WORD_0
	v_fma_f64 v[109:110], v[129:130], s[4:5], v[34:35]
	v_fma_f64 v[111:112], v[131:132], s[6:7], v[117:118]
	v_add_f64 v[30:31], v[4:5], v[16:17]
	v_add_f64 v[74:75], v[14:15], v[24:25]
	;; [unrolled: 1-line block ×5, first 2 shown]
	v_add3_u32 v78, 0, v44, v45
	v_fma_f64 v[44:45], v[129:130], s[6:7], v[34:35]
	v_add_f64 v[34:35], v[28:29], v[6:7]
	ds_write_b128 v76, v[48:51] offset:2880
	v_add_f64 v[48:49], v[32:33], v[12:13]
	v_add_f64 v[68:69], v[18:19], v[10:11]
	;; [unrolled: 1-line block ×3, first 2 shown]
	ds_write_b128 v76, v[81:84]
	ds_write_b128 v76, v[105:108] offset:1440
	ds_write_b128 v78, v[40:43]
	ds_write_b128 v78, v[109:112] offset:1440
	v_add_f64 v[42:43], v[85:86], v[24:25]
	v_add_f64 v[84:85], v[147:148], v[22:23]
	;; [unrolled: 1-line block ×3, first 2 shown]
	v_fma_f64 v[30:31], v[30:31], -0.5, v[141:142]
	v_fma_f64 v[50:51], v[74:75], -0.5, v[143:144]
	v_add_f64 v[74:75], v[14:15], -v[24:25]
	v_add_f64 v[4:5], v[4:5], -v[16:17]
	v_add_f64 v[40:41], v[102:103], v[16:17]
	v_fma_f64 v[80:81], v[113:114], -0.5, v[145:146]
	v_fma_f64 v[82:83], v[115:116], -0.5, v[147:148]
	v_add_f64 v[102:103], v[22:23], -v[2:3]
	v_add_f64 v[8:9], v[8:9], -v[0:1]
	v_fma_f64 v[34:35], v[34:35], -0.5, v[153:154]
	v_fma_f64 v[113:114], v[48:49], -0.5, v[155:156]
	v_add_f64 v[121:122], v[28:29], -v[6:7]
	v_add_f64 v[105:106], v[151:152], v[26:27]
	v_add_f64 v[107:108], v[149:150], v[18:19]
	v_fma_f64 v[68:69], v[68:69], -0.5, v[149:150]
	v_fma_f64 v[70:71], v[70:71], -0.5, v[151:152]
	v_add_f64 v[109:110], v[26:27], -v[20:21]
	v_add_f64 v[111:112], v[18:19], -v[10:11]
	v_fma_f64 v[46:47], v[131:132], s[4:5], v[117:118]
	v_add_f64 v[115:116], v[155:156], v[32:33]
	v_add_f64 v[117:118], v[153:154], v[28:29]
	;; [unrolled: 1-line block ×4, first 2 shown]
	v_fma_f64 v[14:15], v[74:75], s[4:5], v[30:31]
	v_fma_f64 v[16:17], v[4:5], s[6:7], v[50:51]
	;; [unrolled: 1-line block ×10, first 2 shown]
	v_lshlrev_b32_sdwa v34, v63, v77 dst_sel:DWORD dst_unused:UNUSED_PAD src0_sel:DWORD src1_sel:WORD_0
	v_fma_f64 v[76:77], v[121:122], s[4:5], v[113:114]
	v_add_f64 v[20:21], v[105:106], v[20:21]
	v_add_f64 v[18:19], v[107:108], v[10:11]
	v_fma_f64 v[8:9], v[109:110], s[4:5], v[68:69]
	v_fma_f64 v[10:11], v[111:112], s[6:7], v[70:71]
	;; [unrolled: 1-line block ×4, first 2 shown]
	v_add_f64 v[70:71], v[115:116], v[12:13]
	v_add_f64 v[68:69], v[117:118], v[6:7]
	v_fma_f64 v[6:7], v[121:122], s[6:7], v[113:114]
	v_mul_u32_u24_e32 v13, 0x10e0, v67
	v_add3_u32 v12, 0, v65, v66
	ds_write_b128 v78, v[44:47] offset:2880
	v_mul_u32_u24_e32 v35, 0x10e0, v72
	v_lshlrev_b32_sdwa v44, v63, v73 dst_sel:DWORD dst_unused:UNUSED_PAD src0_sel:DWORD src1_sel:WORD_0
	v_add3_u32 v13, 0, v13, v34
	ds_write_b128 v12, v[40:43]
	ds_write_b128 v12, v[14:17] offset:1440
	ds_write_b128 v12, v[22:25] offset:2880
	ds_write_b128 v13, v[0:3]
	ds_write_b128 v13, v[26:29] offset:1440
	v_lshl_add_u32 v2, v79, 4, 0
	v_add3_u32 v12, 0, v35, v44
	ds_write_b128 v13, v[30:33] offset:2880
	ds_write_b128 v12, v[18:21]
	ds_write_b128 v12, v[8:11] offset:1440
	ds_write_b128 v12, v[48:51] offset:2880
	;; [unrolled: 1-line block ×5, first 2 shown]
	v_lshlrev_b32_e32 v2, 1, v90
	v_mov_b32_e32 v3, v37
	v_add_co_u32 v0, s0, 0x1000, v38
	v_add_co_ci_u32_e64 v1, s0, 0, v39, s0
	v_add_co_u32 v8, s0, 0x1040, v38
	v_lshlrev_b64 v[10:11], 4, v[2:3]
	v_add_co_ci_u32_e64 v9, s0, 0, v39, s0
	s_waitcnt lgkmcnt(0)
	s_barrier
	buffer_gl0_inv
	s_clause 0x1
	global_load_dwordx4 v[4:7], v[0:1], off offset:64
	global_load_dwordx4 v[0:3], v[8:9], off offset:16
	v_add_co_u32 v40, s0, s8, v10
	v_lshlrev_b32_e32 v8, 1, v101
	v_mov_b32_e32 v9, v37
	v_add_co_ci_u32_e64 v41, s0, s9, v11, s0
	v_add_co_u32 v10, s0, 0x1000, v40
	v_lshlrev_b64 v[8:9], 4, v[8:9]
	v_add_co_ci_u32_e64 v11, s0, 0, v41, s0
	v_add_co_u32 v12, s0, 0x1040, v40
	v_add_co_ci_u32_e64 v13, s0, 0, v41, s0
	v_add_co_u32 v42, s0, s8, v8
	v_add_co_ci_u32_e64 v43, s0, s9, v9, s0
	v_subrev_nc_u32_e32 v14, 27, v88
	v_cmp_gt_u32_e64 s0, 27, v88
	v_mov_b32_e32 v15, v37
	v_mov_b32_e32 v51, 0x795d
	v_cndmask_b32_e64 v44, v14, v100, s0
	v_add_co_u32 v8, s0, 0x1000, v42
	v_add_co_ci_u32_e64 v9, s0, 0, v43, s0
	v_lshlrev_b32_e32 v14, 1, v44
	v_add_co_u32 v16, s0, 0x1040, v42
	v_add_co_ci_u32_e64 v17, s0, 0, v43, s0
	v_lshlrev_b64 v[14:15], 4, v[14:15]
	s_clause 0x3
	global_load_dwordx4 v[32:35], v[10:11], off offset:64
	global_load_dwordx4 v[28:31], v[12:13], off offset:16
	;; [unrolled: 1-line block ×4, first 2 shown]
	v_add_nc_u32_e32 v8, 0x6c, v36
	v_mov_b32_e32 v9, v37
	v_add_nc_u32_e32 v36, 0x10e, v36
	v_mul_u32_u24_sdwa v20, v97, v51 dst_sel:DWORD dst_unused:UNUSED_PAD src0_sel:WORD_0 src1_sel:DWORD
	v_add_co_u32 v12, s0, s8, v14
	v_add_co_ci_u32_e64 v13, s0, s9, v15, s0
	v_lshlrev_b64 v[8:9], 4, v[8:9]
	v_add_co_u32 v10, s0, 0x1000, v12
	v_add_co_ci_u32_e64 v11, s0, 0, v13, s0
	v_add_co_u32 v12, s0, 0x1040, v12
	v_add_co_ci_u32_e64 v13, s0, 0, v13, s0
	;; [unrolled: 2-line block ×3, first 2 shown]
	v_lshlrev_b64 v[47:48], 4, v[36:37]
	v_add_co_u32 v8, s0, 0x1000, v14
	v_add_co_ci_u32_e64 v9, s0, 0, v15, s0
	v_lshrrev_b32_e32 v36, 23, v20
	v_add_co_u32 v45, s0, 0x1040, v14
	v_add_co_ci_u32_e64 v46, s0, 0, v15, s0
	s_clause 0x3
	global_load_dwordx4 v[65:68], v[10:11], off offset:64
	global_load_dwordx4 v[20:23], v[12:13], off offset:16
	;; [unrolled: 1-line block ×4, first 2 shown]
	v_mul_lo_u16 v45, 0x10e, v36
	v_mul_u32_u24_sdwa v49, v96, v51 dst_sel:DWORD dst_unused:UNUSED_PAD src0_sel:WORD_0 src1_sel:DWORD
	v_add_co_u32 v46, s0, s8, v47
	v_add_co_ci_u32_e64 v50, s0, s9, v48, s0
	v_sub_nc_u16 v45, v97, v45
	v_lshrrev_b32_e32 v69, 23, v49
	v_add_co_u32 v47, s0, 0x1000, v46
	v_add_co_ci_u32_e64 v48, s0, 0, v50, s0
	v_lshlrev_b32_sdwa v64, v64, v45 dst_sel:DWORD dst_unused:UNUSED_PAD src0_sel:DWORD src1_sel:WORD_0
	v_add_co_u32 v49, s0, 0x1040, v46
	v_mul_lo_u16 v46, 0x10e, v69
	v_add_co_ci_u32_e64 v50, s0, 0, v50, s0
	v_add_co_u32 v64, s0, s8, v64
	v_sub_nc_u16 v46, v96, v46
	v_mul_u32_u24_sdwa v69, v95, v51 dst_sel:DWORD dst_unused:UNUSED_PAD src0_sel:WORD_0 src1_sel:DWORD
	v_add_co_ci_u32_e64 v81, null, s9, 0, s0
	v_add_co_u32 v77, s0, 0x1000, v64
	v_and_b32_e32 v46, 0xffff, v46
	v_lshrrev_b32_e32 v82, 23, v69
	v_add_co_ci_u32_e64 v78, s0, 0, v81, s0
	v_mul_u32_u24_sdwa v51, v94, v51 dst_sel:DWORD dst_unused:UNUSED_PAD src0_sel:WORD_0 src1_sel:DWORD
	s_clause 0x2
	global_load_dwordx4 v[69:72], v[47:48], off offset:64
	global_load_dwordx4 v[73:76], v[49:50], off offset:16
	;; [unrolled: 1-line block ×3, first 2 shown]
	v_lshlrev_b32_e32 v47, 5, v46
	v_mul_lo_u16 v48, 0x10e, v82
	v_add_co_u32 v49, s0, 0x1040, v64
	v_lshrrev_b32_e32 v51, 23, v51
	v_add_co_ci_u32_e64 v50, s0, 0, v81, s0
	v_sub_nc_u16 v48, v95, v48
	v_add_co_u32 v47, s0, s8, v47
	v_add_co_ci_u32_e64 v64, null, s9, 0, s0
	v_mul_lo_u16 v51, 0x10e, v51
	v_and_b32_e32 v48, 0xffff, v48
	v_add_co_u32 v85, s0, 0x1000, v47
	v_add_co_ci_u32_e64 v86, s0, 0, v64, s0
	v_add_co_u32 v102, s0, 0x1040, v47
	v_sub_nc_u16 v47, v94, v51
	v_lshlrev_b32_e32 v81, 5, v48
	v_add_co_ci_u32_e64 v103, s0, 0, v64, s0
	v_and_b32_e32 v47, 0xffff, v47
	v_add_co_u32 v51, s0, s8, v81
	global_load_dwordx4 v[81:84], v[49:50], off offset:16
	v_add_co_ci_u32_e64 v64, null, s9, 0, s0
	v_lshlrev_b32_e32 v49, 5, v47
	v_add_co_u32 v113, s0, 0x1000, v51
	v_add_co_ci_u32_e64 v114, s0, 0, v64, s0
	v_add_co_u32 v87, s0, s8, v49
	v_add_co_ci_u32_e64 v91, null, s9, 0, s0
	v_add_co_u32 v49, s0, 0x1040, v51
	v_add_co_ci_u32_e64 v50, s0, 0, v64, s0
	s_clause 0x2
	global_load_dwordx4 v[105:108], v[85:86], off offset:64
	global_load_dwordx4 v[109:112], v[102:103], off offset:16
	;; [unrolled: 1-line block ×3, first 2 shown]
	v_add_co_u32 v85, s0, 0x1000, v87
	v_add_co_ci_u32_e64 v86, s0, 0, v91, s0
	global_load_dwordx4 v[117:120], v[49:50], off offset:16
	v_add_co_u32 v49, s0, 0x1040, v87
	v_add_co_ci_u32_e64 v50, s0, 0, v91, s0
	s_clause 0x1
	global_load_dwordx4 v[121:124], v[85:86], off offset:64
	global_load_dwordx4 v[125:128], v[49:50], off offset:16
	ds_read_b128 v[129:132], v104 offset:12960
	ds_read_b128 v[133:136], v104 offset:25920
	;; [unrolled: 1-line block ×4, first 2 shown]
	ds_read_b128 v[145:148], v104
	ds_read_b128 v[149:152], v104 offset:24624
	ds_read_b128 v[153:156], v104 offset:15552
	;; [unrolled: 1-line block ×5, first 2 shown]
	v_cmp_lt_u32_e64 s0, 26, v88
	s_waitcnt vmcnt(19) lgkmcnt(9)
	v_mul_f64 v[49:50], v[131:132], v[6:7]
	s_waitcnt vmcnt(18) lgkmcnt(8)
	v_mul_f64 v[85:86], v[135:136], v[2:3]
	v_mul_f64 v[2:3], v[133:134], v[2:3]
	;; [unrolled: 1-line block ×3, first 2 shown]
	v_fma_f64 v[49:50], v[129:130], v[4:5], v[49:50]
	v_fma_f64 v[85:86], v[133:134], v[0:1], v[85:86]
	v_fma_f64 v[135:136], v[135:136], v[0:1], -v[2:3]
	ds_read_b128 v[0:3], v104 offset:18144
	v_fma_f64 v[173:174], v[131:132], v[4:5], -v[6:7]
	ds_read_b128 v[4:7], v104 offset:31104
	s_waitcnt vmcnt(17) lgkmcnt(9)
	v_mul_f64 v[102:103], v[139:140], v[34:35]
	v_mul_f64 v[34:35], v[137:138], v[34:35]
	s_waitcnt vmcnt(16) lgkmcnt(8)
	v_mul_f64 v[169:170], v[143:144], v[30:31]
	v_mul_f64 v[171:172], v[141:142], v[30:31]
	;; [unrolled: 3-line block ×3, first 2 shown]
	v_mul_f64 v[129:130], v[155:156], v[26:27]
	v_mul_f64 v[131:132], v[153:154], v[26:27]
	v_fma_f64 v[102:103], v[137:138], v[32:33], v[102:103]
	v_fma_f64 v[34:35], v[139:140], v[32:33], -v[34:35]
	ds_read_b128 v[30:33], v104 offset:19440
	v_fma_f64 v[137:138], v[141:142], v[28:29], v[169:170]
	v_fma_f64 v[139:140], v[143:144], v[28:29], -v[171:172]
	ds_read_b128 v[26:29], v104 offset:32400
	v_fma_f64 v[133:134], v[157:158], v[16:17], v[133:134]
	v_fma_f64 v[159:160], v[159:160], v[16:17], -v[18:19]
	v_fma_f64 v[153:154], v[153:154], v[24:25], v[129:130]
	v_fma_f64 v[155:156], v[155:156], v[24:25], -v[131:132]
	s_waitcnt vmcnt(13) lgkmcnt(5)
	v_mul_f64 v[175:176], v[163:164], v[67:68]
	v_mul_f64 v[67:68], v[161:162], v[67:68]
	s_waitcnt vmcnt(11) lgkmcnt(3)
	v_mul_f64 v[157:158], v[2:3], v[14:15]
	v_mul_f64 v[169:170], v[0:1], v[14:15]
	ds_read_b128 v[14:17], v104 offset:20736
	v_mul_f64 v[141:142], v[167:168], v[22:23]
	v_mul_f64 v[143:144], v[165:166], v[22:23]
	s_waitcnt vmcnt(10) lgkmcnt(3)
	v_mul_f64 v[171:172], v[6:7], v[10:11]
	ds_read_b128 v[22:25], v59
	v_fma_f64 v[161:162], v[161:162], v[65:66], v[175:176]
	v_mul_f64 v[175:176], v[4:5], v[10:11]
	v_fma_f64 v[163:164], v[163:164], v[65:66], -v[67:68]
	ds_read_b128 v[64:67], v104 offset:33696
	v_fma_f64 v[157:158], v[0:1], v[12:13], v[157:158]
	v_fma_f64 v[141:142], v[165:166], v[20:21], v[141:142]
	v_fma_f64 v[143:144], v[167:168], v[20:21], -v[143:144]
	ds_read_b128 v[18:21], v104 offset:22032
	ds_read_b128 v[129:132], v104 offset:34992
	v_fma_f64 v[165:166], v[2:3], v[12:13], -v[169:170]
	ds_read_b128 v[10:13], v104 offset:23328
	v_fma_f64 v[167:168], v[4:5], v[8:9], v[171:172]
	s_waitcnt vmcnt(9) lgkmcnt(7)
	v_mul_f64 v[177:178], v[32:33], v[71:72]
	s_waitcnt vmcnt(8) lgkmcnt(6)
	v_mul_f64 v[179:180], v[28:29], v[75:76]
	v_mul_f64 v[75:76], v[26:27], v[75:76]
	;; [unrolled: 1-line block ×3, first 2 shown]
	s_waitcnt vmcnt(7) lgkmcnt(5)
	v_mul_f64 v[0:1], v[16:17], v[79:80]
	v_mul_f64 v[79:80], v[14:15], v[79:80]
	ds_read_b128 v[2:5], v104 offset:36288
	v_fma_f64 v[169:170], v[6:7], v[8:9], -v[175:176]
	ds_read_b128 v[6:9], v104 offset:37584
	v_fma_f64 v[171:172], v[30:31], v[69:70], v[177:178]
	v_fma_f64 v[177:178], v[26:27], v[73:74], v[179:180]
	v_fma_f64 v[179:180], v[28:29], v[73:74], -v[75:76]
	v_fma_f64 v[175:176], v[32:33], v[69:70], -v[71:72]
	v_fma_f64 v[181:182], v[14:15], v[77:78], v[0:1]
	v_fma_f64 v[183:184], v[16:17], v[77:78], -v[79:80]
	ds_read_b128 v[14:17], v62
	s_waitcnt vmcnt(6) lgkmcnt(6)
	v_mul_f64 v[30:31], v[66:67], v[83:84]
	v_mul_f64 v[26:27], v[64:65], v[83:84]
	s_waitcnt vmcnt(5) lgkmcnt(5)
	v_mul_f64 v[28:29], v[20:21], v[107:108]
	v_mul_f64 v[32:33], v[18:19], v[107:108]
	;; [unrolled: 3-line block ×3, first 2 shown]
	v_mul_f64 v[70:71], v[129:130], v[111:112]
	v_mul_f64 v[74:75], v[10:11], v[115:116]
	v_add_f64 v[107:108], v[22:23], v[161:162]
	s_waitcnt vmcnt(2) lgkmcnt(2)
	v_mul_f64 v[76:77], v[4:5], v[119:120]
	v_mul_f64 v[78:79], v[2:3], v[119:120]
	v_fma_f64 v[185:186], v[64:65], v[81:82], v[30:31]
	v_add_f64 v[64:65], v[49:50], v[85:86]
	s_waitcnt vmcnt(1)
	v_mul_f64 v[83:84], v[151:152], v[123:124]
	v_mul_f64 v[30:31], v[149:150], v[123:124]
	v_fma_f64 v[123:124], v[66:67], v[81:82], -v[26:27]
	s_waitcnt vmcnt(0) lgkmcnt(1)
	v_mul_f64 v[26:27], v[8:9], v[127:128]
	v_add_f64 v[66:67], v[155:156], v[159:160]
	v_add_f64 v[80:81], v[155:156], -v[159:160]
	v_fma_f64 v[187:188], v[18:19], v[105:106], v[28:29]
	v_add_f64 v[18:19], v[173:174], v[135:136]
	v_fma_f64 v[189:190], v[20:21], v[105:106], -v[32:33]
	v_mul_f64 v[20:21], v[6:7], v[127:128]
	v_add_f64 v[28:29], v[147:148], v[173:174]
	v_add_f64 v[32:33], v[102:103], v[137:138]
	v_fma_f64 v[127:128], v[10:11], v[113:114], v[72:73]
	v_add_f64 v[10:11], v[34:35], v[139:140]
	v_fma_f64 v[0:1], v[129:130], v[109:110], v[68:69]
	v_fma_f64 v[129:130], v[131:132], v[109:110], -v[70:71]
	v_fma_f64 v[131:132], v[12:13], v[113:114], -v[74:75]
	v_add_f64 v[12:13], v[153:154], v[133:134]
	v_fma_f64 v[191:192], v[2:3], v[117:118], v[76:77]
	v_fma_f64 v[193:194], v[4:5], v[117:118], -v[78:79]
	ds_read_b128 v[2:5], v61
	v_fma_f64 v[149:150], v[149:150], v[121:122], v[83:84]
	v_fma_f64 v[121:122], v[151:152], v[121:122], -v[30:31]
	v_add_f64 v[30:31], v[161:162], v[141:142]
	v_fma_f64 v[151:152], v[6:7], v[125:126], v[26:27]
	v_fma_f64 v[26:27], v[64:65], -0.5, v[145:146]
	v_add_f64 v[64:65], v[145:146], v[49:50]
	v_add_f64 v[68:69], v[163:164], v[143:144]
	v_add_f64 v[70:71], v[173:174], -v[135:136]
	v_fma_f64 v[18:19], v[18:19], -0.5, v[147:148]
	v_add_f64 v[49:50], v[49:50], -v[85:86]
	v_fma_f64 v[125:126], v[8:9], v[125:126], -v[20:21]
	v_add_f64 v[6:7], v[28:29], v[135:136]
	s_waitcnt lgkmcnt(1)
	v_fma_f64 v[28:29], v[32:33], -0.5, v[14:15]
	v_add_f64 v[20:21], v[16:17], v[34:35]
	v_add_f64 v[32:33], v[14:15], v[102:103]
	v_add_f64 v[34:35], v[34:35], -v[139:140]
	v_fma_f64 v[72:73], v[10:11], -0.5, v[16:17]
	v_add_f64 v[74:75], v[102:103], -v[137:138]
	v_add_f64 v[82:83], v[153:154], -v[133:134]
	s_waitcnt lgkmcnt(0)
	v_fma_f64 v[76:77], v[12:13], -0.5, v[2:3]
	v_add_f64 v[78:79], v[4:5], v[155:156]
	v_add_f64 v[2:3], v[2:3], v[153:154]
	v_fma_f64 v[66:67], v[66:67], -0.5, v[4:5]
	v_add_f64 v[105:106], v[24:25], v[163:164]
	v_fma_f64 v[102:103], v[30:31], -0.5, v[22:23]
	v_add_f64 v[109:110], v[163:164], -v[143:144]
	v_add_f64 v[113:114], v[161:162], -v[141:142]
	v_add_f64 v[4:5], v[64:65], v[85:86]
	v_fma_f64 v[111:112], v[68:69], -0.5, v[24:25]
	v_fma_f64 v[8:9], v[70:71], s[4:5], v[26:27]
	v_fma_f64 v[12:13], v[70:71], s[6:7], v[26:27]
	;; [unrolled: 1-line block ×4, first 2 shown]
	v_add_f64 v[68:69], v[107:108], v[141:142]
	v_add_f64 v[49:50], v[165:166], v[169:170]
	;; [unrolled: 1-line block ×4, first 2 shown]
	v_fma_f64 v[20:21], v[34:35], s[4:5], v[28:29]
	v_fma_f64 v[24:25], v[34:35], s[6:7], v[28:29]
	;; [unrolled: 1-line block ×5, first 2 shown]
	v_add_f64 v[30:31], v[78:79], v[159:160]
	v_add_f64 v[28:29], v[2:3], v[133:134]
	v_fma_f64 v[34:35], v[82:83], s[6:7], v[66:67]
	v_fma_f64 v[64:65], v[80:81], s[6:7], v[76:77]
	;; [unrolled: 1-line block ×3, first 2 shown]
	v_add_f64 v[2:3], v[157:158], v[167:168]
	v_add_f64 v[70:71], v[105:106], v[143:144]
	v_fma_f64 v[72:73], v[109:110], s[4:5], v[102:103]
	v_fma_f64 v[76:77], v[109:110], s[6:7], v[102:103]
	;; [unrolled: 1-line block ×3, first 2 shown]
	ds_read_b128 v[80:83], v60
	v_fma_f64 v[78:79], v[113:114], s[4:5], v[111:112]
	ds_read_b128 v[84:87], v58
	ds_read_b128 v[105:108], v57
	;; [unrolled: 1-line block ×5, first 2 shown]
	s_waitcnt lgkmcnt(0)
	s_barrier
	buffer_gl0_inv
	ds_write_b128 v104, v[4:7]
	v_add_f64 v[4:5], v[171:172], v[177:178]
	v_add_f64 v[6:7], v[175:176], v[179:180]
	ds_write_b128 v104, v[8:11] offset:4320
	ds_write_b128 v104, v[12:15] offset:8640
	ds_write_b128 v62, v[16:19]
	ds_write_b128 v62, v[20:23] offset:4320
	v_lshlrev_b32_e32 v12, 4, v44
	v_cndmask_b32_e64 v13, 0, 0x32a0, s0
	ds_write_b128 v62, v[24:27] offset:8640
	ds_write_b128 v61, v[28:31]
	ds_write_b128 v61, v[32:35] offset:4320
	v_add_f64 v[10:11], v[181:182], v[185:186]
	v_add_f64 v[14:15], v[165:166], -v[169:170]
	v_add3_u32 v28, 0, v13, v12
	ds_write_b128 v61, v[64:67] offset:8640
	ds_write_b128 v28, v[68:71]
	v_add_f64 v[8:9], v[82:83], v[165:166]
	v_fma_f64 v[12:13], v[2:3], -0.5, v[80:81]
	v_add_f64 v[2:3], v[80:81], v[157:158]
	v_add_f64 v[68:69], v[187:188], v[0:1]
	;; [unrolled: 1-line block ×3, first 2 shown]
	v_fma_f64 v[16:17], v[49:50], -0.5, v[82:83]
	v_add_f64 v[18:19], v[157:158], -v[167:168]
	v_add_f64 v[22:23], v[86:87], v[175:176]
	v_fma_f64 v[20:21], v[4:5], -0.5, v[84:85]
	v_add_f64 v[24:25], v[84:85], v[171:172]
	v_add_f64 v[26:27], v[175:176], -v[179:180]
	ds_write_b128 v28, v[72:75] offset:4320
	ds_write_b128 v28, v[76:79] offset:8640
	v_fma_f64 v[28:29], v[6:7], -0.5, v[86:87]
	v_add_f64 v[30:31], v[171:172], -v[177:178]
	v_add_f64 v[32:33], v[183:184], v[123:124]
	v_add_f64 v[34:35], v[107:108], v[183:184]
	;; [unrolled: 1-line block ×7, first 2 shown]
	v_fma_f64 v[49:50], v[10:11], -0.5, v[105:106]
	v_add_f64 v[4:5], v[8:9], v[169:170]
	v_add_f64 v[66:67], v[183:184], -v[123:124]
	v_add_f64 v[2:3], v[2:3], v[167:168]
	v_fma_f64 v[82:83], v[68:69], -0.5, v[109:110]
	v_fma_f64 v[84:85], v[70:71], -0.5, v[111:112]
	v_add_f64 v[68:69], v[111:112], v[189:190]
	v_add_f64 v[70:71], v[109:110], v[187:188]
	v_fma_f64 v[6:7], v[14:15], s[4:5], v[12:13]
	v_fma_f64 v[10:11], v[14:15], s[6:7], v[12:13]
	;; [unrolled: 1-line block ×4, first 2 shown]
	v_add_f64 v[16:17], v[22:23], v[179:180]
	v_add_f64 v[14:15], v[24:25], v[177:178]
	v_fma_f64 v[18:19], v[26:27], s[4:5], v[20:21]
	v_fma_f64 v[22:23], v[26:27], s[6:7], v[20:21]
	v_fma_f64 v[20:21], v[30:31], s[6:7], v[28:29]
	v_fma_f64 v[24:25], v[30:31], s[4:5], v[28:29]
	v_fma_f64 v[80:81], v[32:33], -0.5, v[107:108]
	v_add_f64 v[28:29], v[34:35], v[123:124]
	v_add_f64 v[34:35], v[181:182], -v[185:186]
	v_add_f64 v[86:87], v[189:190], -v[129:130]
	v_add_f64 v[102:103], v[187:188], -v[0:1]
	v_fma_f64 v[105:106], v[72:73], -0.5, v[113:114]
	v_fma_f64 v[107:108], v[74:75], -0.5, v[115:116]
	v_add_f64 v[109:110], v[115:116], v[131:132]
	v_add_f64 v[111:112], v[113:114], v[127:128]
	v_add_f64 v[113:114], v[131:132], -v[193:194]
	v_add_f64 v[115:116], v[127:128], -v[191:192]
	v_fma_f64 v[123:124], v[76:77], -0.5, v[117:118]
	v_fma_f64 v[127:128], v[78:79], -0.5, v[119:120]
	v_add_f64 v[119:120], v[119:120], v[121:122]
	v_add_f64 v[121:122], v[121:122], -v[125:126]
	v_add_f64 v[131:132], v[149:150], -v[151:152]
	v_add_f64 v[117:118], v[117:118], v[149:150]
	v_add_f64 v[26:27], v[64:65], v[185:186]
	ds_write_b128 v104, v[2:5] offset:13824
	v_lshlrev_b32_sdwa v4, v63, v45 dst_sel:DWORD dst_unused:UNUSED_PAD src0_sel:DWORD src1_sel:WORD_0
	v_mul_u32_u24_e32 v5, 0x32a0, v36
	v_add_f64 v[2:3], v[68:69], v[129:130]
	v_add_f64 v[0:1], v[70:71], v[0:1]
	v_fma_f64 v[30:31], v[66:67], s[4:5], v[49:50]
	v_fma_f64 v[32:33], v[34:35], s[6:7], v[80:81]
	;; [unrolled: 1-line block ×8, first 2 shown]
	ds_write_b128 v104, v[6:9] offset:18144
	ds_write_b128 v104, v[10:13] offset:22464
	v_add3_u32 v8, 0, v5, v4
	v_add_f64 v[78:79], v[109:110], v[193:194]
	v_add_f64 v[76:77], v[111:112], v[191:192]
	v_fma_f64 v[80:81], v[113:114], s[4:5], v[105:106]
	v_fma_f64 v[4:5], v[121:122], s[6:7], v[123:124]
	;; [unrolled: 1-line block ×6, first 2 shown]
	v_add_f64 v[105:106], v[117:118], v[151:152]
	v_add_f64 v[107:108], v[119:120], v[125:126]
	v_fma_f64 v[109:110], v[121:122], s[4:5], v[123:124]
	v_fma_f64 v[111:112], v[131:132], s[6:7], v[127:128]
	v_lshl_add_u32 v9, v46, 4, 0
	ds_write_b128 v104, v[14:17] offset:15120
	ds_write_b128 v104, v[18:21] offset:19440
	;; [unrolled: 1-line block ×3, first 2 shown]
	ds_write_b128 v8, v[26:29]
	ds_write_b128 v8, v[30:33] offset:4320
	ds_write_b128 v8, v[64:67] offset:8640
	;; [unrolled: 1-line block ×4, first 2 shown]
	v_lshl_add_u32 v2, v47, 4, 0
	v_lshl_add_u32 v8, v48, 4, 0
	v_add_co_u32 v0, s0, 0x3000, v38
	v_add_co_ci_u32_e64 v1, s0, 0, v39, s0
	ds_write_b128 v9, v[72:75] offset:34560
	ds_write_b128 v8, v[76:79] offset:25920
	;; [unrolled: 1-line block ×7, first 2 shown]
	v_add_co_u32 v2, s0, 0x3200, v38
	v_add_co_ci_u32_e64 v3, s0, 0, v39, s0
	v_add_co_u32 v4, s0, 0x3000, v40
	v_add_co_ci_u32_e64 v5, s0, 0, v41, s0
	;; [unrolled: 2-line block ×3, first 2 shown]
	s_waitcnt lgkmcnt(0)
	s_barrier
	buffer_gl0_inv
	s_clause 0x3
	global_load_dwordx4 v[28:31], v[0:1], off offset:512
	global_load_dwordx4 v[20:23], v[2:3], off offset:16
	;; [unrolled: 1-line block ×4, first 2 shown]
	v_lshlrev_b32_e32 v36, 1, v100
	v_add_co_u32 v0, s0, 0x3000, v42
	v_add_co_ci_u32_e64 v1, s0, 0, v43, s0
	v_lshlrev_b64 v[2:3], 4, v[36:37]
	v_add_co_u32 v4, s0, 0x3200, v42
	v_lshlrev_b32_e32 v36, 1, v99
	v_add_co_ci_u32_e64 v5, s0, 0, v43, s0
	v_add_co_u32 v6, s0, s8, v2
	v_add_co_ci_u32_e64 v7, s0, s9, v3, s0
	s_clause 0x1
	global_load_dwordx4 v[32:35], v[0:1], off offset:512
	global_load_dwordx4 v[38:41], v[4:5], off offset:16
	v_lshlrev_b64 v[0:1], 4, v[36:37]
	v_add_co_u32 v2, s0, 0x3000, v6
	v_add_co_ci_u32_e64 v3, s0, 0, v7, s0
	v_lshlrev_b32_e32 v36, 1, v98
	v_add_co_u32 v8, s0, s8, v0
	v_add_co_ci_u32_e64 v9, s0, s9, v1, s0
	v_add_co_u32 v0, s0, 0x3200, v6
	v_add_co_ci_u32_e64 v1, s0, 0, v7, s0
	;; [unrolled: 2-line block ×4, first 2 shown]
	v_lshlrev_b64 v[8:9], 4, v[36:37]
	s_clause 0x3
	global_load_dwordx4 v[42:45], v[2:3], off offset:512
	global_load_dwordx4 v[46:49], v[0:1], off offset:16
	;; [unrolled: 1-line block ×4, first 2 shown]
	v_lshlrev_b32_e32 v36, 1, v97
	v_add_co_u32 v4, s0, s8, v8
	v_add_co_ci_u32_e64 v5, s0, s9, v9, s0
	v_lshlrev_b64 v[2:3], 4, v[36:37]
	v_add_co_u32 v0, s0, 0x3000, v4
	v_add_co_ci_u32_e64 v1, s0, 0, v5, s0
	v_add_co_u32 v4, s0, 0x3200, v4
	v_add_co_ci_u32_e64 v5, s0, 0, v5, s0
	;; [unrolled: 2-line block ×3, first 2 shown]
	v_lshlrev_b32_e32 v36, 1, v96
	s_clause 0x1
	global_load_dwordx4 v[71:74], v[0:1], off offset:512
	global_load_dwordx4 v[75:78], v[4:5], off offset:16
	v_add_co_u32 v0, s0, 0x3000, v6
	v_add_co_ci_u32_e64 v1, s0, 0, v7, s0
	v_lshlrev_b64 v[2:3], 4, v[36:37]
	v_add_co_u32 v4, s0, 0x3200, v6
	v_add_co_ci_u32_e64 v5, s0, 0, v7, s0
	s_clause 0x1
	global_load_dwordx4 v[79:82], v[0:1], off offset:512
	global_load_dwordx4 v[83:86], v[4:5], off offset:16
	v_add_co_u32 v6, s0, s8, v2
	v_add_co_ci_u32_e64 v7, s0, s9, v3, s0
	v_lshlrev_b32_e32 v36, 1, v95
	v_add_co_u32 v2, s0, 0x3000, v6
	v_add_co_ci_u32_e64 v3, s0, 0, v7, s0
	v_lshlrev_b64 v[0:1], 4, v[36:37]
	v_lshlrev_b32_e32 v36, 1, v94
	global_load_dwordx4 v[105:108], v[2:3], off offset:512
	v_add_co_u32 v2, s0, 0x3200, v6
	v_add_co_ci_u32_e64 v3, s0, 0, v7, s0
	v_add_co_u32 v4, s0, s8, v0
	v_add_co_ci_u32_e64 v5, s0, s9, v1, s0
	global_load_dwordx4 v[109:112], v[2:3], off offset:16
	v_add_co_u32 v0, s0, 0x3000, v4
	v_lshlrev_b64 v[2:3], 4, v[36:37]
	v_add_co_ci_u32_e64 v1, s0, 0, v5, s0
	v_add_co_u32 v8, s0, 0x3200, v4
	v_add_co_ci_u32_e64 v9, s0, 0, v5, s0
	v_add_co_u32 v10, s0, s8, v2
	v_add_co_ci_u32_e64 v11, s0, s9, v3, s0
	s_clause 0x1
	global_load_dwordx4 v[4:7], v[0:1], off offset:512
	global_load_dwordx4 v[0:3], v[8:9], off offset:16
	v_add_co_u32 v8, s0, 0x3000, v10
	v_add_co_ci_u32_e64 v9, s0, 0, v11, s0
	global_load_dwordx4 v[12:15], v[8:9], off offset:512
	v_add_co_u32 v8, s0, 0x3200, v10
	v_add_co_ci_u32_e64 v9, s0, 0, v11, s0
	global_load_dwordx4 v[8:11], v[8:9], off offset:16
	ds_read_b128 v[113:116], v104 offset:12960
	ds_read_b128 v[117:120], v104 offset:25920
	ds_read_b128 v[121:124], v104 offset:14256
	ds_read_b128 v[125:128], v104 offset:27216
	ds_read_b128 v[129:132], v104 offset:15552
	ds_read_b128 v[133:136], v104
	ds_read_b128 v[137:140], v104 offset:28512
	ds_read_b128 v[141:144], v104 offset:24624
	ds_read_b128 v[145:148], v104 offset:16848
	ds_read_b128 v[153:156], v104 offset:18144
	ds_read_b128 v[149:152], v104 offset:29808
	s_waitcnt vmcnt(19) lgkmcnt(10)
	v_mul_f64 v[50:51], v[115:116], v[30:31]
	v_mul_f64 v[30:31], v[113:114], v[30:31]
	s_waitcnt vmcnt(18) lgkmcnt(9)
	v_mul_f64 v[102:103], v[119:120], v[22:23]
	s_waitcnt vmcnt(17) lgkmcnt(8)
	;; [unrolled: 2-line block ×3, first 2 shown]
	v_mul_f64 v[159:160], v[127:128], v[26:27]
	v_mul_f64 v[161:162], v[125:126], v[26:27]
	;; [unrolled: 1-line block ×4, first 2 shown]
	s_waitcnt vmcnt(15) lgkmcnt(6)
	v_mul_f64 v[163:164], v[131:132], v[34:35]
	s_waitcnt vmcnt(14) lgkmcnt(4)
	v_mul_f64 v[167:168], v[139:140], v[40:41]
	v_mul_f64 v[40:41], v[137:138], v[40:41]
	;; [unrolled: 1-line block ×3, first 2 shown]
	v_fma_f64 v[165:166], v[113:114], v[28:29], v[50:51]
	v_fma_f64 v[169:170], v[115:116], v[28:29], -v[30:31]
	ds_read_b128 v[26:29], v104 offset:31104
	ds_read_b128 v[113:116], v104 offset:32400
	v_fma_f64 v[102:103], v[117:118], v[20:21], v[102:103]
	v_fma_f64 v[121:122], v[121:122], v[16:17], v[157:158]
	;; [unrolled: 1-line block ×3, first 2 shown]
	v_fma_f64 v[127:128], v[127:128], v[24:25], -v[161:162]
	v_fma_f64 v[173:174], v[119:120], v[20:21], -v[22:23]
	ds_read_b128 v[20:23], v104 offset:19440
	v_fma_f64 v[123:124], v[123:124], v[16:17], -v[18:19]
	s_waitcnt vmcnt(13) lgkmcnt(5)
	v_mul_f64 v[117:118], v[147:148], v[44:45]
	v_mul_f64 v[44:45], v[145:146], v[44:45]
	v_fma_f64 v[137:138], v[137:138], v[38:39], v[167:168]
	v_fma_f64 v[139:140], v[139:140], v[38:39], -v[40:41]
	s_waitcnt vmcnt(10) lgkmcnt(2)
	v_mul_f64 v[157:158], v[28:29], v[69:70]
	ds_read_b128 v[38:41], v104 offset:22032
	v_mul_f64 v[171:172], v[151:152], v[48:49]
	v_mul_f64 v[24:25], v[149:150], v[48:49]
	ds_read_b128 v[48:51], v104 offset:20736
	v_fma_f64 v[129:130], v[129:130], v[32:33], v[163:164]
	v_fma_f64 v[131:132], v[131:132], v[32:33], -v[34:35]
	ds_read_b128 v[30:33], v104 offset:33696
	v_mul_f64 v[34:35], v[155:156], v[65:66]
	v_mul_f64 v[65:66], v[153:154], v[65:66]
	v_mul_f64 v[69:70], v[26:27], v[69:70]
	v_fma_f64 v[18:19], v[145:146], v[42:43], v[117:118]
	v_fma_f64 v[145:146], v[147:148], v[42:43], -v[44:45]
	ds_read_b128 v[42:45], v104 offset:34992
	s_waitcnt vmcnt(9) lgkmcnt(4)
	v_mul_f64 v[147:148], v[22:23], v[73:74]
	v_mul_f64 v[73:74], v[20:21], v[73:74]
	v_fma_f64 v[157:158], v[26:27], v[67:68], v[157:158]
	v_fma_f64 v[16:17], v[149:150], v[46:47], v[171:172]
	s_waitcnt vmcnt(8)
	v_mul_f64 v[149:150], v[115:116], v[77:78]
	v_mul_f64 v[77:78], v[113:114], v[77:78]
	v_fma_f64 v[151:152], v[151:152], v[46:47], -v[24:25]
	ds_read_b128 v[24:27], v104 offset:36288
	ds_read_b128 v[117:120], v59
	v_fma_f64 v[153:154], v[153:154], v[63:64], v[34:35]
	v_fma_f64 v[155:156], v[155:156], v[63:64], -v[65:66]
	ds_read_b128 v[63:66], v104 offset:23328
	s_waitcnt vmcnt(7) lgkmcnt(5)
	v_mul_f64 v[159:160], v[50:51], v[81:82]
	v_mul_f64 v[46:47], v[48:49], v[81:82]
	s_waitcnt vmcnt(6) lgkmcnt(4)
	v_mul_f64 v[81:82], v[32:33], v[85:86]
	v_mul_f64 v[85:86], v[30:31], v[85:86]
	v_fma_f64 v[161:162], v[28:29], v[67:68], -v[69:70]
	s_waitcnt vmcnt(5)
	v_mul_f64 v[34:35], v[40:41], v[107:108]
	v_mul_f64 v[67:68], v[38:39], v[107:108]
	v_fma_f64 v[113:114], v[113:114], v[75:76], v[149:150]
	v_fma_f64 v[75:76], v[115:116], v[75:76], -v[77:78]
	v_fma_f64 v[77:78], v[48:49], v[79:80], v[159:160]
	v_add_f64 v[48:49], v[169:170], v[173:174]
	v_fma_f64 v[50:51], v[50:51], v[79:80], -v[46:47]
	v_fma_f64 v[79:80], v[30:31], v[83:84], v[81:82]
	ds_read_b128 v[28:31], v62
	s_waitcnt vmcnt(4) lgkmcnt(4)
	v_mul_f64 v[69:70], v[44:45], v[111:112]
	v_mul_f64 v[107:108], v[42:43], v[111:112]
	v_fma_f64 v[111:112], v[20:21], v[71:72], v[147:148]
	v_fma_f64 v[147:148], v[22:23], v[71:72], -v[73:74]
	ds_read_b128 v[20:23], v104 offset:37584
	v_add_f64 v[71:72], v[165:166], v[102:103]
	v_add_f64 v[73:74], v[121:122], v[125:126]
	v_fma_f64 v[81:82], v[32:33], v[83:84], -v[85:86]
	s_waitcnt vmcnt(3) lgkmcnt(2)
	v_mul_f64 v[46:47], v[65:66], v[6:7]
	v_mul_f64 v[6:7], v[63:64], v[6:7]
	v_fma_f64 v[83:84], v[38:39], v[105:106], v[34:35]
	s_waitcnt vmcnt(2)
	v_mul_f64 v[38:39], v[26:27], v[2:3]
	v_mul_f64 v[2:3], v[24:25], v[2:3]
	v_fma_f64 v[85:86], v[40:41], v[105:106], -v[67:68]
	v_add_f64 v[40:41], v[123:124], v[127:128]
	ds_read_b128 v[32:35], v61
	v_add_f64 v[67:68], v[135:136], v[169:170]
	v_fma_f64 v[48:49], v[48:49], -0.5, v[135:136]
	s_waitcnt lgkmcnt(2)
	v_add_f64 v[135:136], v[30:31], v[123:124]
	v_fma_f64 v[105:106], v[42:43], v[109:110], v[69:70]
	v_fma_f64 v[107:108], v[44:45], v[109:110], -v[107:108]
	s_waitcnt vmcnt(1)
	v_mul_f64 v[42:43], v[143:144], v[14:15]
	v_mul_f64 v[14:15], v[141:142], v[14:15]
	v_add_f64 v[69:70], v[133:134], v[165:166]
	v_fma_f64 v[44:45], v[71:72], -0.5, v[133:134]
	v_add_f64 v[109:110], v[165:166], -v[102:103]
	s_waitcnt vmcnt(0) lgkmcnt(1)
	v_mul_f64 v[115:116], v[22:23], v[10:11]
	v_mul_f64 v[133:134], v[20:21], v[10:11]
	v_add_f64 v[71:72], v[169:170], -v[173:174]
	v_fma_f64 v[149:150], v[63:64], v[4:5], v[46:47]
	v_fma_f64 v[46:47], v[73:74], -0.5, v[28:29]
	v_add_f64 v[28:29], v[28:29], v[121:122]
	v_add_f64 v[63:64], v[123:124], -v[127:128]
	v_add_f64 v[73:74], v[129:130], v[137:138]
	v_add_f64 v[123:124], v[131:132], v[139:140]
	v_fma_f64 v[159:160], v[65:66], v[4:5], -v[6:7]
	v_fma_f64 v[163:164], v[24:25], v[0:1], v[38:39]
	v_fma_f64 v[30:31], v[40:41], -0.5, v[30:31]
	v_add_f64 v[38:39], v[121:122], -v[125:126]
	v_fma_f64 v[121:122], v[26:27], v[0:1], -v[2:3]
	v_add_f64 v[2:3], v[67:68], v[173:174]
	v_fma_f64 v[141:142], v[141:142], v[12:13], v[42:43]
	v_fma_f64 v[143:144], v[143:144], v[12:13], -v[14:15]
	v_add_f64 v[0:1], v[69:70], v[102:103]
	s_waitcnt lgkmcnt(0)
	v_add_f64 v[14:15], v[32:33], v[129:130]
	v_fma_f64 v[6:7], v[109:110], s[6:7], v[48:49]
	v_fma_f64 v[12:13], v[109:110], s[4:5], v[48:49]
	;; [unrolled: 1-line block ×3, first 2 shown]
	v_fma_f64 v[109:110], v[22:23], v[8:9], -v[133:134]
	v_add_f64 v[8:9], v[34:35], v[131:132]
	v_fma_f64 v[4:5], v[71:72], s[4:5], v[44:45]
	v_fma_f64 v[10:11], v[71:72], s[6:7], v[44:45]
	v_add_f64 v[22:23], v[135:136], v[127:128]
	v_add_f64 v[20:21], v[28:29], v[125:126]
	v_fma_f64 v[24:25], v[63:64], s[4:5], v[46:47]
	v_fma_f64 v[115:116], v[73:74], -0.5, v[32:33]
	v_fma_f64 v[123:124], v[123:124], -0.5, v[34:35]
	v_add_f64 v[125:126], v[131:132], -v[139:140]
	v_add_f64 v[127:128], v[129:130], -v[137:138]
	v_fma_f64 v[26:27], v[38:39], s[6:7], v[30:31]
	v_add_f64 v[129:130], v[18:19], v[16:17]
	v_add_f64 v[131:132], v[145:146], v[151:152]
	v_fma_f64 v[28:29], v[63:64], s[6:7], v[46:47]
	v_fma_f64 v[30:31], v[38:39], s[4:5], v[30:31]
	v_add_f64 v[135:136], v[111:112], v[113:114]
	ds_read_b128 v[32:35], v60
	ds_read_b128 v[38:41], v58
	;; [unrolled: 1-line block ×6, first 2 shown]
	v_add_f64 v[71:72], v[14:15], v[137:138]
	v_add_f64 v[14:15], v[155:156], v[161:162]
	s_waitcnt lgkmcnt(0)
	s_barrier
	buffer_gl0_inv
	v_add_f64 v[73:74], v[8:9], v[139:140]
	v_add_f64 v[8:9], v[153:154], v[157:158]
	ds_write_b128 v104, v[0:3]
	ds_write_b128 v104, v[4:7] offset:12960
	ds_write_b128 v104, v[10:13] offset:25920
	ds_write_b128 v62, v[20:23]
	v_add_f64 v[22:23], v[147:148], v[75:76]
	v_add_f64 v[12:13], v[117:118], v[18:19]
	v_add_f64 v[20:21], v[145:146], -v[151:152]
	v_fma_f64 v[0:1], v[125:126], s[4:5], v[115:116]
	v_fma_f64 v[2:3], v[127:128], s[6:7], v[123:124]
	ds_write_b128 v62, v[24:27] offset:12960
	ds_write_b128 v62, v[28:31] offset:25920
	v_fma_f64 v[10:11], v[129:130], -0.5, v[117:118]
	v_fma_f64 v[24:25], v[131:132], -0.5, v[119:120]
	v_add_f64 v[18:19], v[18:19], -v[16:17]
	v_fma_f64 v[4:5], v[125:126], s[6:7], v[115:116]
	v_add_f64 v[26:27], v[34:35], v[155:156]
	v_add_f64 v[28:29], v[32:33], v[153:154]
	v_fma_f64 v[34:35], v[14:15], -0.5, v[34:35]
	v_add_f64 v[115:116], v[40:41], v[147:148]
	ds_write_b128 v61, v[71:74]
	v_fma_f64 v[30:31], v[8:9], -0.5, v[32:33]
	v_add_f64 v[32:33], v[155:156], -v[161:162]
	v_add_f64 v[71:72], v[153:154], -v[157:158]
	v_fma_f64 v[73:74], v[135:136], -0.5, v[38:39]
	v_add_f64 v[38:39], v[38:39], v[111:112]
	v_add_f64 v[117:118], v[147:148], -v[75:76]
	v_add_f64 v[133:134], v[119:120], v[145:146]
	v_fma_f64 v[40:41], v[22:23], -0.5, v[40:41]
	v_add_f64 v[111:112], v[111:112], -v[113:114]
	v_add_f64 v[119:120], v[77:78], v[79:80]
	v_fma_f64 v[6:7], v[127:128], s[4:5], v[123:124]
	v_add_f64 v[123:124], v[50:51], v[81:82]
	v_add_f64 v[125:126], v[44:45], v[50:51]
	v_add_f64 v[127:128], v[83:84], v[105:106]
	v_add_f64 v[129:130], v[85:86], v[107:108]
	ds_write_b128 v61, v[0:3] offset:12960
	v_add_f64 v[0:1], v[12:13], v[16:17]
	v_fma_f64 v[8:9], v[20:21], s[4:5], v[10:11]
	v_fma_f64 v[12:13], v[20:21], s[6:7], v[10:11]
	;; [unrolled: 1-line block ×4, first 2 shown]
	v_add_f64 v[18:19], v[26:27], v[161:162]
	v_add_f64 v[16:17], v[28:29], v[157:158]
	v_fma_f64 v[20:21], v[32:33], s[4:5], v[30:31]
	v_fma_f64 v[24:25], v[32:33], s[6:7], v[30:31]
	;; [unrolled: 1-line block ×4, first 2 shown]
	v_add_f64 v[71:72], v[149:150], v[163:164]
	v_add_f64 v[30:31], v[115:116], v[75:76]
	;; [unrolled: 1-line block ×4, first 2 shown]
	v_fma_f64 v[32:33], v[117:118], s[4:5], v[73:74]
	v_fma_f64 v[38:39], v[117:118], s[6:7], v[73:74]
	v_add_f64 v[73:74], v[141:142], v[102:103]
	v_add_f64 v[113:114], v[143:144], v[109:110]
	v_fma_f64 v[34:35], v[111:112], s[6:7], v[40:41]
	v_fma_f64 v[40:41], v[111:112], s[4:5], v[40:41]
	v_fma_f64 v[111:112], v[119:120], -0.5, v[42:43]
	v_add_f64 v[42:43], v[42:43], v[77:78]
	v_fma_f64 v[115:116], v[123:124], -0.5, v[44:45]
	v_add_f64 v[50:51], v[50:51], -v[81:82]
	v_add_f64 v[77:78], v[77:78], -v[79:80]
	v_add_f64 v[117:118], v[48:49], v[85:86]
	v_add_f64 v[119:120], v[46:47], v[83:84]
	;; [unrolled: 1-line block ×3, first 2 shown]
	v_fma_f64 v[81:82], v[127:128], -0.5, v[46:47]
	v_add_f64 v[85:86], v[85:86], -v[107:108]
	v_fma_f64 v[123:124], v[129:130], -0.5, v[48:49]
	v_add_f64 v[83:84], v[83:84], -v[105:106]
	v_add_f64 v[127:128], v[65:66], v[159:160]
	v_add_f64 v[129:130], v[63:64], v[149:150]
	;; [unrolled: 1-line block ×3, first 2 shown]
	v_fma_f64 v[125:126], v[71:72], -0.5, v[63:64]
	v_add_f64 v[131:132], v[159:160], -v[121:122]
	v_fma_f64 v[133:134], v[75:76], -0.5, v[65:66]
	v_add_f64 v[135:136], v[149:150], -v[163:164]
	v_add_f64 v[139:140], v[69:70], v[143:144]
	v_add_f64 v[145:146], v[67:68], v[141:142]
	v_fma_f64 v[137:138], v[73:74], -0.5, v[67:68]
	v_add_f64 v[143:144], v[143:144], -v[109:110]
	v_fma_f64 v[147:148], v[113:114], -0.5, v[69:70]
	v_add_f64 v[141:142], v[141:142], -v[102:103]
	v_add_f64 v[42:43], v[42:43], v[79:80]
	v_fma_f64 v[46:47], v[50:51], s[4:5], v[111:112]
	v_fma_f64 v[48:49], v[77:78], s[6:7], v[115:116]
	v_fma_f64 v[62:63], v[50:51], s[6:7], v[111:112]
	v_fma_f64 v[64:65], v[77:78], s[4:5], v[115:116]
	v_add_f64 v[68:69], v[117:118], v[107:108]
	v_add_f64 v[66:67], v[119:120], v[105:106]
	v_fma_f64 v[70:71], v[85:86], s[4:5], v[81:82]
	v_fma_f64 v[72:73], v[83:84], s[6:7], v[123:124]
	v_fma_f64 v[74:75], v[85:86], s[6:7], v[81:82]
	v_fma_f64 v[76:77], v[83:84], s[4:5], v[123:124]
	v_add_f64 v[80:81], v[127:128], v[121:122]
	;; [unrolled: 6-line block ×3, first 2 shown]
	v_add_f64 v[109:110], v[145:146], v[102:103]
	v_fma_f64 v[113:114], v[143:144], s[4:5], v[137:138]
	v_fma_f64 v[117:118], v[143:144], s[6:7], v[137:138]
	;; [unrolled: 1-line block ×4, first 2 shown]
	ds_write_b128 v61, v[4:7] offset:25920
	ds_write_b128 v59, v[0:3]
	ds_write_b128 v59, v[8:11] offset:12960
	ds_write_b128 v59, v[12:15] offset:25920
	ds_write_b128 v60, v[16:19]
	ds_write_b128 v60, v[20:23] offset:12960
	ds_write_b128 v60, v[24:27] offset:25920
	ds_write_b128 v58, v[28:31]
	ds_write_b128 v58, v[32:35] offset:12960
	ds_write_b128 v58, v[38:41] offset:25920
	ds_write_b128 v57, v[42:45]
	ds_write_b128 v57, v[46:49] offset:12960
	ds_write_b128 v57, v[62:65] offset:25920
	ds_write_b128 v56, v[66:69]
	ds_write_b128 v56, v[70:73] offset:12960
	ds_write_b128 v56, v[74:77] offset:25920
	ds_write_b128 v55, v[78:81]
	ds_write_b128 v55, v[82:85] offset:12960
	ds_write_b128 v55, v[105:108] offset:25920
	ds_write_b128 v54, v[109:112]
	ds_write_b128 v54, v[113:116] offset:12960
	ds_write_b128 v54, v[117:120] offset:25920
	s_waitcnt lgkmcnt(0)
	s_barrier
	buffer_gl0_inv
	ds_read_b128 v[4:7], v104
	v_sub_nc_u32_e32 v10, 0, v89
	s_addc_u32 s4, s9, 0
	s_mov_b32 s5, exec_lo
                                        ; implicit-def: $vgpr2_vgpr3
                                        ; implicit-def: $vgpr8_vgpr9
	v_cmpx_ne_u32_e32 0, v88
	s_xor_b32 s5, exec_lo, s5
	s_cbranch_execz .LBB0_15
; %bb.14:
	v_mov_b32_e32 v89, v37
	v_lshlrev_b64 v[0:1], 4, v[88:89]
	v_add_co_u32 v0, s0, s1, v0
	v_add_co_ci_u32_e64 v1, s0, s4, v1, s0
	global_load_dwordx4 v[11:14], v[0:1], off
	ds_read_b128 v[0:3], v10 offset:38880
	s_waitcnt lgkmcnt(0)
	v_add_f64 v[8:9], v[4:5], -v[0:1]
	v_add_f64 v[15:16], v[6:7], v[2:3]
	v_add_f64 v[2:3], v[6:7], -v[2:3]
	v_add_f64 v[0:1], v[4:5], v[0:1]
	v_mul_f64 v[6:7], v[8:9], 0.5
	v_mul_f64 v[4:5], v[15:16], 0.5
	;; [unrolled: 1-line block ×3, first 2 shown]
	s_waitcnt vmcnt(0)
	v_mul_f64 v[8:9], v[6:7], v[13:14]
	v_fma_f64 v[15:16], v[4:5], v[13:14], v[2:3]
	v_fma_f64 v[2:3], v[4:5], v[13:14], -v[2:3]
	v_fma_f64 v[17:18], v[0:1], 0.5, v[8:9]
	v_fma_f64 v[0:1], v[0:1], 0.5, -v[8:9]
	v_fma_f64 v[8:9], -v[11:12], v[6:7], v[15:16]
	v_fma_f64 v[2:3], -v[11:12], v[6:7], v[2:3]
	v_fma_f64 v[13:14], v[4:5], v[11:12], v[17:18]
	v_fma_f64 v[0:1], -v[4:5], v[11:12], v[0:1]
                                        ; implicit-def: $vgpr4_vgpr5
	ds_write_b64 v104, v[13:14]
.LBB0_15:
	s_or_saveexec_b32 s0, s5
	v_mul_i32_i24_e32 v12, 0xffffff70, v90
	v_mul_i32_i24_e32 v11, 0xffffff70, v101
	s_xor_b32 exec_lo, exec_lo, s0
	s_cbranch_execz .LBB0_17
; %bb.16:
	v_mov_b32_e32 v17, 0
	s_waitcnt lgkmcnt(0)
	v_add_f64 v[15:16], v[4:5], v[6:7]
	v_add_f64 v[0:1], v[4:5], -v[6:7]
	v_mov_b32_e32 v8, 0
	v_mov_b32_e32 v9, 0
	ds_read_b64 v[13:14], v17 offset:19448
	v_mov_b32_e32 v2, v8
	v_mov_b32_e32 v3, v9
	s_waitcnt lgkmcnt(0)
	v_xor_b32_e32 v14, 0x80000000, v14
	ds_write_b64 v104, v[15:16]
	ds_write_b64 v17, v[13:14] offset:19448
.LBB0_17:
	s_or_b32 exec_lo, exec_lo, s0
	v_mov_b32_e32 v91, 0
	ds_write_b64 v104, v[8:9] offset:8
	v_add_nc_u32_e32 v12, v52, v12
	ds_write_b128 v10, v[0:3] offset:38880
	s_waitcnt lgkmcnt(2)
	v_lshlrev_b64 v[4:5], 4, v[90:91]
	v_mov_b32_e32 v102, v91
	v_add_nc_u32_e32 v90, 0x32a, v88
	v_lshlrev_b64 v[13:14], 4, v[101:102]
	v_add_co_u32 v4, s0, s1, v4
	v_add_co_ci_u32_e64 v5, s0, s4, v5, s0
	v_mov_b32_e32 v101, v91
	v_add_co_u32 v13, s0, s1, v13
	global_load_dwordx4 v[4:7], v[4:5], off
	v_add_co_ci_u32_e64 v14, s0, s4, v14, s0
	v_lshlrev_b64 v[8:9], 4, v[100:101]
	v_mov_b32_e32 v100, v91
	global_load_dwordx4 v[13:16], v[13:14], off
	ds_read_b128 v[0:3], v12
	ds_read_b128 v[17:20], v10 offset:37584
	v_add_co_u32 v8, s0, s1, v8
	v_add_co_ci_u32_e64 v9, s0, s4, v9, s0
	global_load_dwordx4 v[21:24], v[8:9], off
	s_waitcnt lgkmcnt(0)
	v_add_f64 v[8:9], v[0:1], -v[17:18]
	v_add_f64 v[25:26], v[2:3], v[19:20]
	v_add_f64 v[2:3], v[2:3], -v[19:20]
	v_add_f64 v[0:1], v[0:1], v[17:18]
	v_mul_f64 v[8:9], v[8:9], 0.5
	v_mul_f64 v[19:20], v[25:26], 0.5
	;; [unrolled: 1-line block ×3, first 2 shown]
	s_waitcnt vmcnt(2)
	v_mul_f64 v[17:18], v[8:9], v[6:7]
	v_fma_f64 v[25:26], v[19:20], v[6:7], v[2:3]
	v_fma_f64 v[6:7], v[19:20], v[6:7], -v[2:3]
	v_fma_f64 v[27:28], v[0:1], 0.5, v[17:18]
	v_fma_f64 v[17:18], v[0:1], 0.5, -v[17:18]
	v_fma_f64 v[2:3], -v[4:5], v[8:9], v[25:26]
	v_fma_f64 v[6:7], -v[4:5], v[8:9], v[6:7]
	v_lshlrev_b64 v[8:9], 4, v[99:100]
	v_mov_b32_e32 v99, v91
	v_add_co_u32 v8, s0, s1, v8
	v_add_co_ci_u32_e64 v9, s0, s4, v9, s0
	v_fma_f64 v[0:1], v[19:20], v[4:5], v[27:28]
	v_fma_f64 v[4:5], -v[19:20], v[4:5], v[17:18]
	v_add_nc_u32_e32 v27, v53, v11
	ds_write_b128 v12, v[0:3]
	ds_write_b128 v10, v[4:7] offset:37584
	ds_read_b128 v[0:3], v27
	ds_read_b128 v[4:7], v10 offset:36288
	global_load_dwordx4 v[17:20], v[8:9], off
	s_waitcnt lgkmcnt(0)
	v_add_f64 v[8:9], v[0:1], -v[4:5]
	v_add_f64 v[11:12], v[2:3], v[6:7]
	v_add_f64 v[2:3], v[2:3], -v[6:7]
	v_add_f64 v[0:1], v[0:1], v[4:5]
	v_mul_f64 v[6:7], v[8:9], 0.5
	v_mul_f64 v[8:9], v[11:12], 0.5
	v_mul_f64 v[2:3], v[2:3], 0.5
	s_waitcnt vmcnt(2)
	v_mul_f64 v[4:5], v[6:7], v[15:16]
	v_fma_f64 v[11:12], v[8:9], v[15:16], v[2:3]
	v_fma_f64 v[15:16], v[8:9], v[15:16], -v[2:3]
	v_fma_f64 v[25:26], v[0:1], 0.5, v[4:5]
	v_fma_f64 v[4:5], v[0:1], 0.5, -v[4:5]
	v_fma_f64 v[2:3], -v[13:14], v[6:7], v[11:12]
	v_fma_f64 v[6:7], -v[13:14], v[6:7], v[15:16]
	v_fma_f64 v[0:1], v[8:9], v[13:14], v[25:26]
	v_fma_f64 v[4:5], -v[8:9], v[13:14], v[4:5]
	v_lshlrev_b64 v[8:9], 4, v[98:99]
	v_mov_b32_e32 v98, v91
	ds_write_b128 v27, v[0:3]
	ds_write_b128 v10, v[4:7] offset:36288
	v_add_co_u32 v8, s0, s1, v8
	ds_read_b128 v[0:3], v59
	ds_read_b128 v[4:7], v10 offset:34992
	v_add_co_ci_u32_e64 v9, s0, s4, v9, s0
	global_load_dwordx4 v[11:14], v[8:9], off
	s_waitcnt lgkmcnt(0)
	v_add_f64 v[8:9], v[0:1], -v[4:5]
	v_add_f64 v[15:16], v[2:3], v[6:7]
	v_add_f64 v[2:3], v[2:3], -v[6:7]
	v_add_f64 v[0:1], v[0:1], v[4:5]
	v_mul_f64 v[6:7], v[8:9], 0.5
	v_mul_f64 v[8:9], v[15:16], 0.5
	v_mul_f64 v[2:3], v[2:3], 0.5
	s_waitcnt vmcnt(2)
	v_mul_f64 v[4:5], v[6:7], v[23:24]
	v_fma_f64 v[15:16], v[8:9], v[23:24], v[2:3]
	v_fma_f64 v[23:24], v[8:9], v[23:24], -v[2:3]
	v_fma_f64 v[25:26], v[0:1], 0.5, v[4:5]
	v_fma_f64 v[4:5], v[0:1], 0.5, -v[4:5]
	v_fma_f64 v[2:3], -v[21:22], v[6:7], v[15:16]
	v_fma_f64 v[6:7], -v[21:22], v[6:7], v[23:24]
	v_fma_f64 v[0:1], v[8:9], v[21:22], v[25:26]
	v_fma_f64 v[4:5], -v[8:9], v[21:22], v[4:5]
	v_lshlrev_b64 v[8:9], 4, v[97:98]
	v_mov_b32_e32 v97, v91
	ds_write_b128 v59, v[0:3]
	ds_write_b128 v10, v[4:7] offset:34992
	v_add_co_u32 v8, s0, s1, v8
	ds_read_b128 v[0:3], v60
	ds_read_b128 v[4:7], v10 offset:33696
	v_add_co_ci_u32_e64 v9, s0, s4, v9, s0
	global_load_dwordx4 v[21:24], v[8:9], off
	s_waitcnt lgkmcnt(0)
	v_add_f64 v[8:9], v[0:1], -v[4:5]
	v_add_f64 v[15:16], v[2:3], v[6:7]
	v_add_f64 v[2:3], v[2:3], -v[6:7]
	v_add_f64 v[0:1], v[0:1], v[4:5]
	v_mul_f64 v[6:7], v[8:9], 0.5
	v_mul_f64 v[8:9], v[15:16], 0.5
	v_mul_f64 v[2:3], v[2:3], 0.5
	s_waitcnt vmcnt(2)
	v_mul_f64 v[4:5], v[6:7], v[19:20]
	v_fma_f64 v[15:16], v[8:9], v[19:20], v[2:3]
	v_fma_f64 v[19:20], v[8:9], v[19:20], -v[2:3]
	v_fma_f64 v[25:26], v[0:1], 0.5, v[4:5]
	v_fma_f64 v[4:5], v[0:1], 0.5, -v[4:5]
	v_fma_f64 v[2:3], -v[17:18], v[6:7], v[15:16]
	v_fma_f64 v[6:7], -v[17:18], v[6:7], v[19:20]
	v_fma_f64 v[0:1], v[8:9], v[17:18], v[25:26]
	v_fma_f64 v[4:5], -v[8:9], v[17:18], v[4:5]
	v_lshlrev_b64 v[8:9], 4, v[96:97]
	v_mov_b32_e32 v96, v91
	ds_write_b128 v60, v[0:3]
	ds_write_b128 v10, v[4:7] offset:33696
	v_add_co_u32 v8, s0, s1, v8
	ds_read_b128 v[0:3], v58
	ds_read_b128 v[4:7], v10 offset:32400
	v_add_co_ci_u32_e64 v9, s0, s4, v9, s0
	global_load_dwordx4 v[15:18], v[8:9], off
	s_waitcnt lgkmcnt(0)
	v_add_f64 v[8:9], v[0:1], -v[4:5]
	v_add_f64 v[19:20], v[2:3], v[6:7]
	v_add_f64 v[2:3], v[2:3], -v[6:7]
	v_add_f64 v[0:1], v[0:1], v[4:5]
	v_mul_f64 v[6:7], v[8:9], 0.5
	v_mul_f64 v[8:9], v[19:20], 0.5
	v_mul_f64 v[2:3], v[2:3], 0.5
	s_waitcnt vmcnt(2)
	v_mul_f64 v[4:5], v[6:7], v[13:14]
	v_fma_f64 v[19:20], v[8:9], v[13:14], v[2:3]
	v_fma_f64 v[13:14], v[8:9], v[13:14], -v[2:3]
	v_fma_f64 v[25:26], v[0:1], 0.5, v[4:5]
	v_fma_f64 v[4:5], v[0:1], 0.5, -v[4:5]
	v_fma_f64 v[2:3], -v[11:12], v[6:7], v[19:20]
	v_fma_f64 v[6:7], -v[11:12], v[6:7], v[13:14]
	v_fma_f64 v[0:1], v[8:9], v[11:12], v[25:26]
	v_fma_f64 v[4:5], -v[8:9], v[11:12], v[4:5]
	v_lshlrev_b64 v[8:9], 4, v[95:96]
	v_mov_b32_e32 v95, v91
	ds_write_b128 v58, v[0:3]
	ds_write_b128 v10, v[4:7] offset:32400
	v_add_co_u32 v8, s0, s1, v8
	ds_read_b128 v[0:3], v57
	ds_read_b128 v[4:7], v10 offset:31104
	v_add_co_ci_u32_e64 v9, s0, s4, v9, s0
	global_load_dwordx4 v[11:14], v[8:9], off
	s_waitcnt lgkmcnt(0)
	v_add_f64 v[8:9], v[0:1], -v[4:5]
	v_add_f64 v[19:20], v[2:3], v[6:7]
	v_add_f64 v[2:3], v[2:3], -v[6:7]
	v_add_f64 v[0:1], v[0:1], v[4:5]
	v_mul_f64 v[6:7], v[8:9], 0.5
	v_mul_f64 v[8:9], v[19:20], 0.5
	;; [unrolled: 1-line block ×3, first 2 shown]
	s_waitcnt vmcnt(2)
	v_mul_f64 v[4:5], v[6:7], v[23:24]
	v_fma_f64 v[19:20], v[8:9], v[23:24], v[2:3]
	v_fma_f64 v[23:24], v[8:9], v[23:24], -v[2:3]
	v_fma_f64 v[25:26], v[0:1], 0.5, v[4:5]
	v_fma_f64 v[4:5], v[0:1], 0.5, -v[4:5]
	v_fma_f64 v[2:3], -v[21:22], v[6:7], v[19:20]
	v_fma_f64 v[6:7], -v[21:22], v[6:7], v[23:24]
	v_fma_f64 v[0:1], v[8:9], v[21:22], v[25:26]
	v_fma_f64 v[4:5], -v[8:9], v[21:22], v[4:5]
	v_lshlrev_b64 v[8:9], 4, v[94:95]
	ds_write_b128 v57, v[0:3]
	ds_write_b128 v10, v[4:7] offset:31104
	v_add_co_u32 v8, s0, s1, v8
	ds_read_b128 v[0:3], v56
	ds_read_b128 v[4:7], v10 offset:29808
	v_add_co_ci_u32_e64 v9, s0, s4, v9, s0
	global_load_dwordx4 v[19:22], v[8:9], off
	s_waitcnt lgkmcnt(0)
	v_add_f64 v[8:9], v[0:1], -v[4:5]
	v_add_f64 v[23:24], v[2:3], v[6:7]
	v_add_f64 v[2:3], v[2:3], -v[6:7]
	v_add_f64 v[0:1], v[0:1], v[4:5]
	v_mul_f64 v[6:7], v[8:9], 0.5
	v_mul_f64 v[8:9], v[23:24], 0.5
	v_mul_f64 v[2:3], v[2:3], 0.5
	s_waitcnt vmcnt(2)
	v_mul_f64 v[4:5], v[6:7], v[17:18]
	v_fma_f64 v[23:24], v[8:9], v[17:18], v[2:3]
	v_fma_f64 v[17:18], v[8:9], v[17:18], -v[2:3]
	v_fma_f64 v[25:26], v[0:1], 0.5, v[4:5]
	v_fma_f64 v[4:5], v[0:1], 0.5, -v[4:5]
	v_fma_f64 v[2:3], -v[15:16], v[6:7], v[23:24]
	v_fma_f64 v[6:7], -v[15:16], v[6:7], v[17:18]
	v_fma_f64 v[0:1], v[8:9], v[15:16], v[25:26]
	v_fma_f64 v[4:5], -v[8:9], v[15:16], v[4:5]
	v_lshlrev_b64 v[8:9], 4, v[90:91]
	v_add_nc_u32_e32 v90, 0x37b, v88
	ds_write_b128 v56, v[0:3]
	ds_write_b128 v10, v[4:7] offset:29808
	v_add_co_u32 v8, s0, s1, v8
	ds_read_b128 v[0:3], v55
	ds_read_b128 v[4:7], v10 offset:28512
	v_add_co_ci_u32_e64 v9, s0, s4, v9, s0
	global_load_dwordx4 v[15:18], v[8:9], off
	s_waitcnt lgkmcnt(0)
	v_add_f64 v[8:9], v[0:1], -v[4:5]
	v_add_f64 v[23:24], v[2:3], v[6:7]
	v_add_f64 v[2:3], v[2:3], -v[6:7]
	v_add_f64 v[0:1], v[0:1], v[4:5]
	v_mul_f64 v[6:7], v[8:9], 0.5
	v_mul_f64 v[8:9], v[23:24], 0.5
	v_mul_f64 v[2:3], v[2:3], 0.5
	s_waitcnt vmcnt(2)
	v_mul_f64 v[4:5], v[6:7], v[13:14]
	v_fma_f64 v[23:24], v[8:9], v[13:14], v[2:3]
	v_fma_f64 v[13:14], v[8:9], v[13:14], -v[2:3]
	v_fma_f64 v[25:26], v[0:1], 0.5, v[4:5]
	v_fma_f64 v[4:5], v[0:1], 0.5, -v[4:5]
	v_fma_f64 v[2:3], -v[11:12], v[6:7], v[23:24]
	v_fma_f64 v[6:7], -v[11:12], v[6:7], v[13:14]
	v_fma_f64 v[0:1], v[8:9], v[11:12], v[25:26]
	v_fma_f64 v[4:5], -v[8:9], v[11:12], v[4:5]
	v_lshlrev_b64 v[8:9], 4, v[90:91]
	v_add_nc_u32_e32 v90, 0x3cc, v88
	;; [unrolled: 27-line block ×3, first 2 shown]
	ds_write_b128 v54, v[0:3]
	ds_write_b128 v10, v[4:7] offset:27216
	v_add_co_u32 v8, s0, s1, v8
	ds_read_b128 v[0:3], v104 offset:12960
	ds_read_b128 v[4:7], v10 offset:25920
	v_add_co_ci_u32_e64 v9, s0, s4, v9, s0
	global_load_dwordx4 v[19:22], v[8:9], off
	s_waitcnt lgkmcnt(0)
	v_add_f64 v[8:9], v[0:1], -v[4:5]
	v_add_f64 v[23:24], v[2:3], v[6:7]
	v_add_f64 v[2:3], v[2:3], -v[6:7]
	v_add_f64 v[0:1], v[0:1], v[4:5]
	v_mul_f64 v[6:7], v[8:9], 0.5
	v_mul_f64 v[8:9], v[23:24], 0.5
	;; [unrolled: 1-line block ×3, first 2 shown]
	s_waitcnt vmcnt(2)
	v_mul_f64 v[4:5], v[6:7], v[17:18]
	v_fma_f64 v[23:24], v[8:9], v[17:18], v[2:3]
	v_fma_f64 v[17:18], v[8:9], v[17:18], -v[2:3]
	v_fma_f64 v[25:26], v[0:1], 0.5, v[4:5]
	v_fma_f64 v[4:5], v[0:1], 0.5, -v[4:5]
	v_fma_f64 v[2:3], -v[15:16], v[6:7], v[23:24]
	v_fma_f64 v[6:7], -v[15:16], v[6:7], v[17:18]
	v_fma_f64 v[0:1], v[8:9], v[15:16], v[25:26]
	v_fma_f64 v[4:5], -v[8:9], v[15:16], v[4:5]
	v_lshlrev_b64 v[8:9], 4, v[90:91]
	v_add_nc_u32_e32 v90, 0x46e, v88
	ds_write_b128 v104, v[0:3] offset:12960
	ds_write_b128 v10, v[4:7] offset:25920
	v_add_co_u32 v8, s0, s1, v8
	ds_read_b128 v[0:3], v104 offset:14256
	ds_read_b128 v[4:7], v10 offset:24624
	v_add_co_ci_u32_e64 v9, s0, s4, v9, s0
	global_load_dwordx4 v[15:18], v[8:9], off
	s_waitcnt lgkmcnt(0)
	v_add_f64 v[8:9], v[0:1], -v[4:5]
	v_add_f64 v[23:24], v[2:3], v[6:7]
	v_add_f64 v[2:3], v[2:3], -v[6:7]
	v_add_f64 v[0:1], v[0:1], v[4:5]
	v_mul_f64 v[6:7], v[8:9], 0.5
	v_mul_f64 v[8:9], v[23:24], 0.5
	;; [unrolled: 1-line block ×3, first 2 shown]
	s_waitcnt vmcnt(2)
	v_mul_f64 v[4:5], v[6:7], v[13:14]
	v_fma_f64 v[23:24], v[8:9], v[13:14], v[2:3]
	v_fma_f64 v[13:14], v[8:9], v[13:14], -v[2:3]
	v_fma_f64 v[25:26], v[0:1], 0.5, v[4:5]
	v_fma_f64 v[4:5], v[0:1], 0.5, -v[4:5]
	v_fma_f64 v[2:3], -v[11:12], v[6:7], v[23:24]
	v_fma_f64 v[6:7], -v[11:12], v[6:7], v[13:14]
	v_fma_f64 v[0:1], v[8:9], v[11:12], v[25:26]
	v_fma_f64 v[4:5], -v[8:9], v[11:12], v[4:5]
	v_lshlrev_b64 v[8:9], 4, v[90:91]
	ds_write_b128 v104, v[0:3] offset:14256
	ds_write_b128 v10, v[4:7] offset:24624
	v_add_co_u32 v8, s0, s1, v8
	ds_read_b128 v[0:3], v104 offset:15552
	ds_read_b128 v[4:7], v10 offset:23328
	v_add_co_ci_u32_e64 v9, s0, s4, v9, s0
	global_load_dwordx4 v[11:14], v[8:9], off
	s_waitcnt lgkmcnt(0)
	v_add_f64 v[8:9], v[0:1], -v[4:5]
	v_add_f64 v[23:24], v[2:3], v[6:7]
	v_add_f64 v[2:3], v[2:3], -v[6:7]
	v_add_f64 v[0:1], v[0:1], v[4:5]
	v_mul_f64 v[6:7], v[8:9], 0.5
	v_mul_f64 v[8:9], v[23:24], 0.5
	;; [unrolled: 1-line block ×3, first 2 shown]
	s_waitcnt vmcnt(2)
	v_mul_f64 v[4:5], v[6:7], v[21:22]
	v_fma_f64 v[23:24], v[8:9], v[21:22], v[2:3]
	v_fma_f64 v[21:22], v[8:9], v[21:22], -v[2:3]
	v_fma_f64 v[25:26], v[0:1], 0.5, v[4:5]
	v_fma_f64 v[4:5], v[0:1], 0.5, -v[4:5]
	v_fma_f64 v[2:3], -v[19:20], v[6:7], v[23:24]
	v_fma_f64 v[6:7], -v[19:20], v[6:7], v[21:22]
	v_fma_f64 v[0:1], v[8:9], v[19:20], v[25:26]
	v_fma_f64 v[4:5], -v[8:9], v[19:20], v[4:5]
	ds_write_b128 v104, v[0:3] offset:15552
	ds_write_b128 v10, v[4:7] offset:23328
	ds_read_b128 v[0:3], v104 offset:16848
	ds_read_b128 v[4:7], v10 offset:22032
	s_waitcnt lgkmcnt(0)
	v_add_f64 v[8:9], v[0:1], -v[4:5]
	v_add_f64 v[19:20], v[2:3], v[6:7]
	v_add_f64 v[2:3], v[2:3], -v[6:7]
	v_add_f64 v[0:1], v[0:1], v[4:5]
	v_mul_f64 v[6:7], v[8:9], 0.5
	v_mul_f64 v[8:9], v[19:20], 0.5
	;; [unrolled: 1-line block ×3, first 2 shown]
	s_waitcnt vmcnt(1)
	v_mul_f64 v[4:5], v[6:7], v[17:18]
	v_fma_f64 v[19:20], v[8:9], v[17:18], v[2:3]
	v_fma_f64 v[17:18], v[8:9], v[17:18], -v[2:3]
	v_fma_f64 v[21:22], v[0:1], 0.5, v[4:5]
	v_fma_f64 v[4:5], v[0:1], 0.5, -v[4:5]
	v_fma_f64 v[2:3], -v[15:16], v[6:7], v[19:20]
	v_fma_f64 v[6:7], -v[15:16], v[6:7], v[17:18]
	v_fma_f64 v[0:1], v[8:9], v[15:16], v[21:22]
	v_fma_f64 v[4:5], -v[8:9], v[15:16], v[4:5]
	ds_write_b128 v104, v[0:3] offset:16848
	ds_write_b128 v10, v[4:7] offset:22032
	ds_read_b128 v[0:3], v104 offset:18144
	ds_read_b128 v[4:7], v10 offset:20736
	s_waitcnt lgkmcnt(0)
	v_add_f64 v[8:9], v[0:1], -v[4:5]
	v_add_f64 v[15:16], v[2:3], v[6:7]
	v_add_f64 v[2:3], v[2:3], -v[6:7]
	v_add_f64 v[0:1], v[0:1], v[4:5]
	v_mul_f64 v[6:7], v[8:9], 0.5
	v_mul_f64 v[8:9], v[15:16], 0.5
	;; [unrolled: 1-line block ×3, first 2 shown]
	s_waitcnt vmcnt(0)
	v_mul_f64 v[4:5], v[6:7], v[13:14]
	v_fma_f64 v[15:16], v[8:9], v[13:14], v[2:3]
	v_fma_f64 v[13:14], v[8:9], v[13:14], -v[2:3]
	v_fma_f64 v[17:18], v[0:1], 0.5, v[4:5]
	v_fma_f64 v[4:5], v[0:1], 0.5, -v[4:5]
	v_fma_f64 v[2:3], -v[11:12], v[6:7], v[15:16]
	v_fma_f64 v[6:7], -v[11:12], v[6:7], v[13:14]
	v_fma_f64 v[0:1], v[8:9], v[11:12], v[17:18]
	v_fma_f64 v[4:5], -v[8:9], v[11:12], v[4:5]
	ds_write_b128 v104, v[0:3] offset:18144
	ds_write_b128 v10, v[4:7] offset:20736
	s_waitcnt lgkmcnt(0)
	s_barrier
	buffer_gl0_inv
	s_and_saveexec_b32 s0, vcc_lo
	s_cbranch_execz .LBB0_20
; %bb.18:
	v_mov_b32_e32 v89, v91
	ds_read_b128 v[2:5], v104
	ds_read_b128 v[6:9], v104 offset:1296
	ds_read_b128 v[10:13], v104 offset:2592
	;; [unrolled: 1-line block ×3, first 2 shown]
	v_add_co_u32 v0, vcc_lo, s2, v92
	v_add_co_ci_u32_e32 v1, vcc_lo, s3, v93, vcc_lo
	v_lshlrev_b64 v[18:19], 4, v[88:89]
	v_add_co_u32 v34, vcc_lo, v0, v18
	v_add_co_ci_u32_e32 v35, vcc_lo, v1, v19, vcc_lo
	ds_read_b128 v[18:21], v104 offset:5184
	ds_read_b128 v[22:25], v104 offset:6480
	v_add_co_u32 v26, vcc_lo, 0x800, v34
	v_add_co_ci_u32_e32 v27, vcc_lo, 0, v35, vcc_lo
	s_waitcnt lgkmcnt(5)
	global_store_dwordx4 v[34:35], v[2:5], off
	s_waitcnt lgkmcnt(4)
	global_store_dwordx4 v[34:35], v[6:9], off offset:1296
	s_waitcnt lgkmcnt(3)
	global_store_dwordx4 v[26:27], v[10:13], off offset:544
	;; [unrolled: 2-line block ×3, first 2 shown]
	ds_read_b128 v[2:5], v104 offset:7776
	ds_read_b128 v[6:9], v104 offset:9072
	;; [unrolled: 1-line block ×6, first 2 shown]
	v_add_co_u32 v36, vcc_lo, 0x1000, v34
	v_add_co_ci_u32_e32 v37, vcc_lo, 0, v35, vcc_lo
	v_add_co_u32 v38, vcc_lo, 0x1800, v34
	v_add_co_ci_u32_e32 v39, vcc_lo, 0, v35, vcc_lo
	s_waitcnt lgkmcnt(7)
	global_store_dwordx4 v[36:37], v[18:21], off offset:1088
	s_waitcnt lgkmcnt(6)
	global_store_dwordx4 v[38:39], v[22:25], off offset:336
	v_add_co_u32 v18, vcc_lo, 0x2000, v34
	v_add_co_ci_u32_e32 v19, vcc_lo, 0, v35, vcc_lo
	v_add_co_u32 v20, vcc_lo, 0x2800, v34
	v_add_co_ci_u32_e32 v21, vcc_lo, 0, v35, vcc_lo
	;; [unrolled: 2-line block ×3, first 2 shown]
	s_waitcnt lgkmcnt(5)
	global_store_dwordx4 v[38:39], v[2:5], off offset:1632
	s_waitcnt lgkmcnt(4)
	global_store_dwordx4 v[18:19], v[6:9], off offset:880
	;; [unrolled: 2-line block ×6, first 2 shown]
	ds_read_b128 v[2:5], v104 offset:15552
	ds_read_b128 v[6:9], v104 offset:16848
	;; [unrolled: 1-line block ×6, first 2 shown]
	v_add_co_u32 v26, vcc_lo, 0x3800, v34
	v_add_co_ci_u32_e32 v27, vcc_lo, 0, v35, vcc_lo
	v_add_co_u32 v28, vcc_lo, 0x4000, v34
	v_add_co_ci_u32_e32 v29, vcc_lo, 0, v35, vcc_lo
	;; [unrolled: 2-line block ×4, first 2 shown]
	s_waitcnt lgkmcnt(5)
	global_store_dwordx4 v[26:27], v[2:5], off offset:1216
	s_waitcnt lgkmcnt(4)
	global_store_dwordx4 v[28:29], v[6:9], off offset:464
	;; [unrolled: 2-line block ×6, first 2 shown]
	ds_read_b128 v[2:5], v104 offset:23328
	ds_read_b128 v[6:9], v104 offset:24624
	;; [unrolled: 1-line block ×8, first 2 shown]
	v_add_co_u32 v36, vcc_lo, 0x5800, v34
	v_add_co_ci_u32_e32 v37, vcc_lo, 0, v35, vcc_lo
	v_add_co_u32 v38, vcc_lo, 0x6000, v34
	v_add_co_ci_u32_e32 v39, vcc_lo, 0, v35, vcc_lo
	;; [unrolled: 2-line block ×3, first 2 shown]
	s_waitcnt lgkmcnt(7)
	global_store_dwordx4 v[36:37], v[2:5], off offset:800
	s_waitcnt lgkmcnt(6)
	global_store_dwordx4 v[38:39], v[6:9], off offset:48
	;; [unrolled: 2-line block ×5, first 2 shown]
	v_add_co_u32 v18, vcc_lo, 0x7000, v34
	v_add_co_ci_u32_e32 v19, vcc_lo, 0, v35, vcc_lo
	v_add_co_u32 v20, vcc_lo, 0x7800, v34
	ds_read_b128 v[2:5], v104 offset:33696
	ds_read_b128 v[6:9], v104 offset:34992
	;; [unrolled: 1-line block ×4, first 2 shown]
	v_add_co_ci_u32_e32 v21, vcc_lo, 0, v35, vcc_lo
	s_waitcnt lgkmcnt(6)
	global_store_dwordx4 v[18:19], v[22:25], off offset:1136
	s_waitcnt lgkmcnt(5)
	global_store_dwordx4 v[20:21], v[26:29], off offset:384
	;; [unrolled: 2-line block ×3, first 2 shown]
	v_add_co_u32 v18, vcc_lo, 0x8000, v34
	v_add_co_ci_u32_e32 v19, vcc_lo, 0, v35, vcc_lo
	v_add_co_u32 v20, vcc_lo, 0x8800, v34
	v_add_co_ci_u32_e32 v21, vcc_lo, 0, v35, vcc_lo
	;; [unrolled: 2-line block ×3, first 2 shown]
	v_cmp_eq_u32_e32 vcc_lo, 0x50, v88
	s_waitcnt lgkmcnt(3)
	global_store_dwordx4 v[18:19], v[2:5], off offset:928
	s_waitcnt lgkmcnt(2)
	global_store_dwordx4 v[20:21], v[6:9], off offset:176
	;; [unrolled: 2-line block ×4, first 2 shown]
	s_and_b32 exec_lo, exec_lo, vcc_lo
	s_cbranch_execz .LBB0_20
; %bb.19:
	v_mov_b32_e32 v2, 0
	v_add_co_u32 v0, vcc_lo, 0x9000, v0
	v_add_co_ci_u32_e32 v1, vcc_lo, 0, v1, vcc_lo
	ds_read_b128 v[2:5], v2 offset:38880
	s_waitcnt lgkmcnt(0)
	global_store_dwordx4 v[0:1], v[2:5], off offset:2016
.LBB0_20:
	s_endpgm
	.section	.rodata,"a",@progbits
	.p2align	6, 0x0
	.amdhsa_kernel fft_rtc_back_len2430_factors_10_3_3_3_3_3_wgs_81_tpt_81_halfLds_dp_ip_CI_unitstride_sbrr_R2C_dirReg
		.amdhsa_group_segment_fixed_size 0
		.amdhsa_private_segment_fixed_size 0
		.amdhsa_kernarg_size 88
		.amdhsa_user_sgpr_count 6
		.amdhsa_user_sgpr_private_segment_buffer 1
		.amdhsa_user_sgpr_dispatch_ptr 0
		.amdhsa_user_sgpr_queue_ptr 0
		.amdhsa_user_sgpr_kernarg_segment_ptr 1
		.amdhsa_user_sgpr_dispatch_id 0
		.amdhsa_user_sgpr_flat_scratch_init 0
		.amdhsa_user_sgpr_private_segment_size 0
		.amdhsa_wavefront_size32 1
		.amdhsa_uses_dynamic_stack 0
		.amdhsa_system_sgpr_private_segment_wavefront_offset 0
		.amdhsa_system_sgpr_workgroup_id_x 1
		.amdhsa_system_sgpr_workgroup_id_y 0
		.amdhsa_system_sgpr_workgroup_id_z 0
		.amdhsa_system_sgpr_workgroup_info 0
		.amdhsa_system_vgpr_workitem_id 0
		.amdhsa_next_free_vgpr 195
		.amdhsa_next_free_sgpr 21
		.amdhsa_reserve_vcc 1
		.amdhsa_reserve_flat_scratch 0
		.amdhsa_float_round_mode_32 0
		.amdhsa_float_round_mode_16_64 0
		.amdhsa_float_denorm_mode_32 3
		.amdhsa_float_denorm_mode_16_64 3
		.amdhsa_dx10_clamp 1
		.amdhsa_ieee_mode 1
		.amdhsa_fp16_overflow 0
		.amdhsa_workgroup_processor_mode 1
		.amdhsa_memory_ordered 1
		.amdhsa_forward_progress 0
		.amdhsa_shared_vgpr_count 0
		.amdhsa_exception_fp_ieee_invalid_op 0
		.amdhsa_exception_fp_denorm_src 0
		.amdhsa_exception_fp_ieee_div_zero 0
		.amdhsa_exception_fp_ieee_overflow 0
		.amdhsa_exception_fp_ieee_underflow 0
		.amdhsa_exception_fp_ieee_inexact 0
		.amdhsa_exception_int_div_zero 0
	.end_amdhsa_kernel
	.text
.Lfunc_end0:
	.size	fft_rtc_back_len2430_factors_10_3_3_3_3_3_wgs_81_tpt_81_halfLds_dp_ip_CI_unitstride_sbrr_R2C_dirReg, .Lfunc_end0-fft_rtc_back_len2430_factors_10_3_3_3_3_3_wgs_81_tpt_81_halfLds_dp_ip_CI_unitstride_sbrr_R2C_dirReg
                                        ; -- End function
	.section	.AMDGPU.csdata,"",@progbits
; Kernel info:
; codeLenInByte = 27072
; NumSgprs: 23
; NumVgprs: 195
; ScratchSize: 0
; MemoryBound: 0
; FloatMode: 240
; IeeeMode: 1
; LDSByteSize: 0 bytes/workgroup (compile time only)
; SGPRBlocks: 2
; VGPRBlocks: 24
; NumSGPRsForWavesPerEU: 23
; NumVGPRsForWavesPerEU: 195
; Occupancy: 4
; WaveLimiterHint : 1
; COMPUTE_PGM_RSRC2:SCRATCH_EN: 0
; COMPUTE_PGM_RSRC2:USER_SGPR: 6
; COMPUTE_PGM_RSRC2:TRAP_HANDLER: 0
; COMPUTE_PGM_RSRC2:TGID_X_EN: 1
; COMPUTE_PGM_RSRC2:TGID_Y_EN: 0
; COMPUTE_PGM_RSRC2:TGID_Z_EN: 0
; COMPUTE_PGM_RSRC2:TIDIG_COMP_CNT: 0
	.text
	.p2alignl 6, 3214868480
	.fill 48, 4, 3214868480
	.type	__hip_cuid_1769b5de91050c64,@object ; @__hip_cuid_1769b5de91050c64
	.section	.bss,"aw",@nobits
	.globl	__hip_cuid_1769b5de91050c64
__hip_cuid_1769b5de91050c64:
	.byte	0                               ; 0x0
	.size	__hip_cuid_1769b5de91050c64, 1

	.ident	"AMD clang version 19.0.0git (https://github.com/RadeonOpenCompute/llvm-project roc-6.4.0 25133 c7fe45cf4b819c5991fe208aaa96edf142730f1d)"
	.section	".note.GNU-stack","",@progbits
	.addrsig
	.addrsig_sym __hip_cuid_1769b5de91050c64
	.amdgpu_metadata
---
amdhsa.kernels:
  - .args:
      - .actual_access:  read_only
        .address_space:  global
        .offset:         0
        .size:           8
        .value_kind:     global_buffer
      - .offset:         8
        .size:           8
        .value_kind:     by_value
      - .actual_access:  read_only
        .address_space:  global
        .offset:         16
        .size:           8
        .value_kind:     global_buffer
      - .actual_access:  read_only
        .address_space:  global
        .offset:         24
        .size:           8
        .value_kind:     global_buffer
      - .offset:         32
        .size:           8
        .value_kind:     by_value
      - .actual_access:  read_only
        .address_space:  global
        .offset:         40
        .size:           8
        .value_kind:     global_buffer
      - .actual_access:  read_only
        .address_space:  global
        .offset:         48
        .size:           8
        .value_kind:     global_buffer
      - .offset:         56
        .size:           4
        .value_kind:     by_value
      - .actual_access:  read_only
        .address_space:  global
        .offset:         64
        .size:           8
        .value_kind:     global_buffer
      - .actual_access:  read_only
        .address_space:  global
        .offset:         72
        .size:           8
        .value_kind:     global_buffer
      - .address_space:  global
        .offset:         80
        .size:           8
        .value_kind:     global_buffer
    .group_segment_fixed_size: 0
    .kernarg_segment_align: 8
    .kernarg_segment_size: 88
    .language:       OpenCL C
    .language_version:
      - 2
      - 0
    .max_flat_workgroup_size: 81
    .name:           fft_rtc_back_len2430_factors_10_3_3_3_3_3_wgs_81_tpt_81_halfLds_dp_ip_CI_unitstride_sbrr_R2C_dirReg
    .private_segment_fixed_size: 0
    .sgpr_count:     23
    .sgpr_spill_count: 0
    .symbol:         fft_rtc_back_len2430_factors_10_3_3_3_3_3_wgs_81_tpt_81_halfLds_dp_ip_CI_unitstride_sbrr_R2C_dirReg.kd
    .uniform_work_group_size: 1
    .uses_dynamic_stack: false
    .vgpr_count:     195
    .vgpr_spill_count: 0
    .wavefront_size: 32
    .workgroup_processor_mode: 1
amdhsa.target:   amdgcn-amd-amdhsa--gfx1030
amdhsa.version:
  - 1
  - 2
...

	.end_amdgpu_metadata
